;; amdgpu-corpus repo=ROCm/rocFFT kind=compiled arch=gfx950 opt=O3
	.text
	.amdgcn_target "amdgcn-amd-amdhsa--gfx950"
	.amdhsa_code_object_version 6
	.protected	fft_rtc_back_len2560_factors_4_4_4_10_4_wgs_128_tpt_128_halfLds_dp_ip_CI_unitstride_sbrr_dirReg ; -- Begin function fft_rtc_back_len2560_factors_4_4_4_10_4_wgs_128_tpt_128_halfLds_dp_ip_CI_unitstride_sbrr_dirReg
	.globl	fft_rtc_back_len2560_factors_4_4_4_10_4_wgs_128_tpt_128_halfLds_dp_ip_CI_unitstride_sbrr_dirReg
	.p2align	8
	.type	fft_rtc_back_len2560_factors_4_4_4_10_4_wgs_128_tpt_128_halfLds_dp_ip_CI_unitstride_sbrr_dirReg,@function
fft_rtc_back_len2560_factors_4_4_4_10_4_wgs_128_tpt_128_halfLds_dp_ip_CI_unitstride_sbrr_dirReg: ; @fft_rtc_back_len2560_factors_4_4_4_10_4_wgs_128_tpt_128_halfLds_dp_ip_CI_unitstride_sbrr_dirReg
; %bb.0:
	s_load_dwordx2 s[8:9], s[0:1], 0x50
	s_load_dwordx4 s[4:7], s[0:1], 0x0
	s_load_dwordx2 s[10:11], s[0:1], 0x18
	v_mov_b32_e32 v6, s2
	v_mov_b32_e32 v4, 0
	v_mov_b32_e32 v7, v4
	s_waitcnt lgkmcnt(0)
	v_cmp_lt_u64_e64 s[2:3], s[6:7], 2
	s_and_b64 vcc, exec, s[2:3]
	v_mov_b64_e32 v[2:3], 0
	s_cbranch_vccnz .LBB0_8
; %bb.1:
	s_load_dwordx2 s[2:3], s[0:1], 0x10
	s_add_u32 s12, s10, 8
	s_addc_u32 s13, s11, 0
	s_mov_b64 s[14:15], 1
	v_mov_b64_e32 v[2:3], 0
	s_waitcnt lgkmcnt(0)
	s_add_u32 s16, s2, 8
	s_addc_u32 s17, s3, 0
.LBB0_2:                                ; =>This Inner Loop Header: Depth=1
	s_load_dwordx2 s[18:19], s[16:17], 0x0
                                        ; implicit-def: $vgpr8_vgpr9
	s_waitcnt lgkmcnt(0)
	v_or_b32_e32 v5, s19, v7
	v_cmp_ne_u64_e32 vcc, 0, v[4:5]
	s_and_saveexec_b64 s[2:3], vcc
	s_xor_b64 s[20:21], exec, s[2:3]
	s_cbranch_execz .LBB0_4
; %bb.3:                                ;   in Loop: Header=BB0_2 Depth=1
	v_cvt_f32_u32_e32 v1, s18
	v_cvt_f32_u32_e32 v5, s19
	s_sub_u32 s2, 0, s18
	s_subb_u32 s3, 0, s19
	v_fmac_f32_e32 v1, 0x4f800000, v5
	v_rcp_f32_e32 v1, v1
	s_nop 0
	v_mul_f32_e32 v1, 0x5f7ffffc, v1
	v_mul_f32_e32 v5, 0x2f800000, v1
	v_trunc_f32_e32 v5, v5
	v_fmac_f32_e32 v1, 0xcf800000, v5
	v_cvt_u32_f32_e32 v5, v5
	v_cvt_u32_f32_e32 v1, v1
	v_mul_lo_u32 v8, s2, v5
	v_mul_hi_u32 v10, s2, v1
	v_mul_lo_u32 v9, s3, v1
	v_add_u32_e32 v10, v10, v8
	v_mul_lo_u32 v12, s2, v1
	v_add_u32_e32 v13, v10, v9
	v_mul_hi_u32 v8, v1, v12
	v_mul_hi_u32 v11, v1, v13
	v_mul_lo_u32 v10, v1, v13
	v_mov_b32_e32 v9, v4
	v_lshl_add_u64 v[8:9], v[8:9], 0, v[10:11]
	v_mul_hi_u32 v11, v5, v12
	v_mul_lo_u32 v12, v5, v12
	v_add_co_u32_e32 v8, vcc, v8, v12
	v_mul_hi_u32 v10, v5, v13
	s_nop 0
	v_addc_co_u32_e32 v8, vcc, v9, v11, vcc
	v_mov_b32_e32 v9, v4
	s_nop 0
	v_addc_co_u32_e32 v11, vcc, 0, v10, vcc
	v_mul_lo_u32 v10, v5, v13
	v_lshl_add_u64 v[8:9], v[8:9], 0, v[10:11]
	v_add_co_u32_e32 v1, vcc, v1, v8
	v_mul_lo_u32 v10, s2, v1
	s_nop 0
	v_addc_co_u32_e32 v5, vcc, v5, v9, vcc
	v_mul_lo_u32 v8, s2, v5
	v_mul_hi_u32 v9, s2, v1
	v_add_u32_e32 v8, v9, v8
	v_mul_lo_u32 v9, s3, v1
	v_add_u32_e32 v12, v8, v9
	v_mul_hi_u32 v14, v5, v10
	v_mul_lo_u32 v15, v5, v10
	v_mul_hi_u32 v9, v1, v12
	v_mul_lo_u32 v8, v1, v12
	v_mul_hi_u32 v10, v1, v10
	v_mov_b32_e32 v11, v4
	v_lshl_add_u64 v[8:9], v[10:11], 0, v[8:9]
	v_add_co_u32_e32 v8, vcc, v8, v15
	v_mul_hi_u32 v13, v5, v12
	s_nop 0
	v_addc_co_u32_e32 v8, vcc, v9, v14, vcc
	v_mul_lo_u32 v10, v5, v12
	s_nop 0
	v_addc_co_u32_e32 v11, vcc, 0, v13, vcc
	v_mov_b32_e32 v9, v4
	v_lshl_add_u64 v[8:9], v[8:9], 0, v[10:11]
	v_add_co_u32_e32 v1, vcc, v1, v8
	v_mul_hi_u32 v10, v6, v1
	s_nop 0
	v_addc_co_u32_e32 v5, vcc, v5, v9, vcc
	v_mad_u64_u32 v[8:9], s[2:3], v6, v5, 0
	v_mov_b32_e32 v11, v4
	v_lshl_add_u64 v[8:9], v[10:11], 0, v[8:9]
	v_mad_u64_u32 v[12:13], s[2:3], v7, v1, 0
	v_add_co_u32_e32 v1, vcc, v8, v12
	v_mad_u64_u32 v[10:11], s[2:3], v7, v5, 0
	s_nop 0
	v_addc_co_u32_e32 v8, vcc, v9, v13, vcc
	v_mov_b32_e32 v9, v4
	s_nop 0
	v_addc_co_u32_e32 v11, vcc, 0, v11, vcc
	v_lshl_add_u64 v[8:9], v[8:9], 0, v[10:11]
	v_mul_lo_u32 v1, s19, v8
	v_mul_lo_u32 v5, s18, v9
	v_mad_u64_u32 v[10:11], s[2:3], s18, v8, 0
	v_add3_u32 v1, v11, v5, v1
	v_sub_u32_e32 v5, v7, v1
	v_mov_b32_e32 v11, s19
	v_sub_co_u32_e32 v14, vcc, v6, v10
	v_lshl_add_u64 v[12:13], v[8:9], 0, 1
	s_nop 0
	v_subb_co_u32_e64 v5, s[2:3], v5, v11, vcc
	v_subrev_co_u32_e64 v10, s[2:3], s18, v14
	v_subb_co_u32_e32 v1, vcc, v7, v1, vcc
	s_nop 0
	v_subbrev_co_u32_e64 v5, s[2:3], 0, v5, s[2:3]
	v_cmp_le_u32_e64 s[2:3], s19, v5
	v_cmp_le_u32_e32 vcc, s19, v1
	s_nop 0
	v_cndmask_b32_e64 v11, 0, -1, s[2:3]
	v_cmp_le_u32_e64 s[2:3], s18, v10
	s_nop 1
	v_cndmask_b32_e64 v10, 0, -1, s[2:3]
	v_cmp_eq_u32_e64 s[2:3], s19, v5
	s_nop 1
	v_cndmask_b32_e64 v5, v11, v10, s[2:3]
	v_lshl_add_u64 v[10:11], v[8:9], 0, 2
	v_cmp_ne_u32_e64 s[2:3], 0, v5
	s_nop 1
	v_cndmask_b32_e64 v5, v13, v11, s[2:3]
	v_cndmask_b32_e64 v11, 0, -1, vcc
	v_cmp_le_u32_e32 vcc, s18, v14
	s_nop 1
	v_cndmask_b32_e64 v13, 0, -1, vcc
	v_cmp_eq_u32_e32 vcc, s19, v1
	s_nop 1
	v_cndmask_b32_e32 v1, v11, v13, vcc
	v_cmp_ne_u32_e32 vcc, 0, v1
	v_cndmask_b32_e64 v1, v12, v10, s[2:3]
	s_nop 0
	v_cndmask_b32_e32 v9, v9, v5, vcc
	v_cndmask_b32_e32 v8, v8, v1, vcc
.LBB0_4:                                ;   in Loop: Header=BB0_2 Depth=1
	s_andn2_saveexec_b64 s[2:3], s[20:21]
	s_cbranch_execz .LBB0_6
; %bb.5:                                ;   in Loop: Header=BB0_2 Depth=1
	v_cvt_f32_u32_e32 v1, s18
	s_sub_i32 s20, 0, s18
	v_rcp_iflag_f32_e32 v1, v1
	s_nop 0
	v_mul_f32_e32 v1, 0x4f7ffffe, v1
	v_cvt_u32_f32_e32 v1, v1
	v_mul_lo_u32 v5, s20, v1
	v_mul_hi_u32 v5, v1, v5
	v_add_u32_e32 v1, v1, v5
	v_mul_hi_u32 v1, v6, v1
	v_mul_lo_u32 v5, v1, s18
	v_sub_u32_e32 v5, v6, v5
	v_add_u32_e32 v8, 1, v1
	v_subrev_u32_e32 v9, s18, v5
	v_cmp_le_u32_e32 vcc, s18, v5
	s_nop 1
	v_cndmask_b32_e32 v5, v5, v9, vcc
	v_cndmask_b32_e32 v1, v1, v8, vcc
	v_add_u32_e32 v8, 1, v1
	v_cmp_le_u32_e32 vcc, s18, v5
	v_mov_b32_e32 v9, v4
	s_nop 0
	v_cndmask_b32_e32 v8, v1, v8, vcc
.LBB0_6:                                ;   in Loop: Header=BB0_2 Depth=1
	s_or_b64 exec, exec, s[2:3]
	v_mad_u64_u32 v[10:11], s[2:3], v8, s18, 0
	s_load_dwordx2 s[2:3], s[12:13], 0x0
	v_mul_lo_u32 v1, v9, s18
	v_mul_lo_u32 v5, v8, s19
	v_add3_u32 v1, v11, v5, v1
	v_sub_co_u32_e32 v5, vcc, v6, v10
	s_add_u32 s14, s14, 1
	s_nop 0
	v_subb_co_u32_e32 v1, vcc, v7, v1, vcc
	s_addc_u32 s15, s15, 0
	s_waitcnt lgkmcnt(0)
	v_mul_lo_u32 v1, s2, v1
	v_mul_lo_u32 v6, s3, v5
	v_mad_u64_u32 v[2:3], s[2:3], s2, v5, v[2:3]
	s_add_u32 s12, s12, 8
	v_add3_u32 v3, v6, v3, v1
	s_addc_u32 s13, s13, 0
	v_mov_b64_e32 v[6:7], s[6:7]
	s_add_u32 s16, s16, 8
	v_cmp_ge_u64_e32 vcc, s[14:15], v[6:7]
	s_addc_u32 s17, s17, 0
	s_cbranch_vccnz .LBB0_9
; %bb.7:                                ;   in Loop: Header=BB0_2 Depth=1
	v_mov_b64_e32 v[6:7], v[8:9]
	s_branch .LBB0_2
.LBB0_8:
	v_mov_b64_e32 v[8:9], v[6:7]
.LBB0_9:
	s_lshl_b64 s[2:3], s[6:7], 3
	s_add_u32 s2, s10, s2
	s_addc_u32 s3, s11, s3
	s_load_dwordx2 s[6:7], s[2:3], 0x0
	s_load_dwordx2 s[10:11], s[0:1], 0x20
                                        ; implicit-def: $vgpr85
                                        ; implicit-def: $vgpr130
                                        ; implicit-def: $vgpr131
	s_waitcnt lgkmcnt(0)
	v_mul_lo_u32 v1, s6, v9
	v_mul_lo_u32 v4, s7, v8
	v_mad_u64_u32 v[2:3], s[0:1], s6, v8, v[2:3]
	v_add3_u32 v3, v4, v3, v1
	v_cmp_gt_u64_e32 vcc, s[10:11], v[8:9]
	v_cmp_le_u64_e64 s[0:1], s[10:11], v[8:9]
                                        ; implicit-def: $vgpr1
	s_and_saveexec_b64 s[2:3], s[0:1]
	s_xor_b64 s[0:1], exec, s[2:3]
; %bb.10:
	v_or_b32_e32 v85, 0x80, v0
	v_or_b32_e32 v1, 0x100, v0
	;; [unrolled: 1-line block ×4, first 2 shown]
; %bb.11:
	s_or_saveexec_b64 s[0:1], s[0:1]
	v_lshl_add_u64 v[82:83], v[2:3], 4, s[8:9]
	v_lshlrev_b32_e32 v84, 4, v0
                                        ; implicit-def: $vgpr36_vgpr37
                                        ; implicit-def: $vgpr40_vgpr41
                                        ; implicit-def: $vgpr72_vgpr73
                                        ; implicit-def: $vgpr12_vgpr13
                                        ; implicit-def: $vgpr56_vgpr57
                                        ; implicit-def: $vgpr16_vgpr17
                                        ; implicit-def: $vgpr52_vgpr53
                                        ; implicit-def: $vgpr20_vgpr21
                                        ; implicit-def: $vgpr48_vgpr49
                                        ; implicit-def: $vgpr24_vgpr25
                                        ; implicit-def: $vgpr64_vgpr65
                                        ; implicit-def: $vgpr8_vgpr9
                                        ; implicit-def: $vgpr60_vgpr61
                                        ; implicit-def: $vgpr28_vgpr29
                                        ; implicit-def: $vgpr68_vgpr69
                                        ; implicit-def: $vgpr32_vgpr33
                                        ; implicit-def: $vgpr76_vgpr77
                                        ; implicit-def: $vgpr4_vgpr5
                                        ; implicit-def: $vgpr80_vgpr81
                                        ; implicit-def: $vgpr44_vgpr45
	s_xor_b64 exec, exec, s[0:1]
	s_cbranch_execz .LBB0_13
; %bb.12:
	v_mov_b32_e32 v85, 0
	v_or_b32_e32 v2, 0x2800, v84
	v_mov_b32_e32 v3, v85
	v_lshl_add_u64 v[2:3], v[82:83], 0, v[2:3]
	v_or_b32_e32 v4, 0x5000, v84
	v_mov_b32_e32 v5, v85
	v_lshl_add_u64 v[6:7], v[82:83], 0, v[84:85]
	v_lshl_add_u64 v[4:5], v[82:83], 0, v[4:5]
	global_load_dwordx4 v[34:37], v[2:3], off
	global_load_dwordx4 v[38:41], v[4:5], off
	v_or_b32_e32 v2, 0x7800, v84
	v_mov_b32_e32 v3, v85
	v_lshl_add_u64 v[62:63], v[82:83], 0, v[2:3]
	global_load_dwordx4 v[42:45], v[6:7], off
	global_load_dwordx4 v[2:5], v[6:7], off offset:2048
	v_or_b32_e32 v6, 0x3000, v84
	v_mov_b32_e32 v7, v85
	v_lshl_add_u64 v[64:65], v[82:83], 0, v[6:7]
	v_or_b32_e32 v6, 0x5800, v84
	v_lshl_add_u64 v[86:87], v[82:83], 0, v[6:7]
	v_or_b32_e32 v6, 0x8000, v84
	v_or_b32_e32 v1, 0x100, v0
	v_lshl_add_u64 v[88:89], v[82:83], 0, v[6:7]
	v_lshlrev_b32_e32 v6, 4, v1
	v_lshl_add_u64 v[90:91], v[82:83], 0, v[6:7]
	v_or_b32_e32 v6, 0x3800, v84
	v_lshl_add_u64 v[92:93], v[82:83], 0, v[6:7]
	v_or_b32_e32 v6, 0x6000, v84
	v_lshl_add_u64 v[94:95], v[82:83], 0, v[6:7]
	v_or_b32_e32 v6, 0x8800, v84
	v_or_b32_e32 v130, 0x180, v0
	v_lshl_add_u64 v[96:97], v[82:83], 0, v[6:7]
	v_lshlrev_b32_e32 v6, 4, v130
	v_lshl_add_u64 v[98:99], v[82:83], 0, v[6:7]
	v_or_b32_e32 v6, 0x4000, v84
	;; [unrolled: 9-line block ×3, first 2 shown]
	v_lshl_add_u64 v[108:109], v[82:83], 0, v[6:7]
	v_or_b32_e32 v6, 0x7000, v84
	v_lshl_add_u64 v[110:111], v[82:83], 0, v[6:7]
	v_or_b32_e32 v6, 0x9800, v84
	v_lshl_add_u64 v[112:113], v[82:83], 0, v[6:7]
	global_load_dwordx4 v[78:81], v[62:63], off
	global_load_dwordx4 v[70:73], v[64:65], off
	;; [unrolled: 1-line block ×15, first 2 shown]
                                        ; kill: killed $vgpr106_vgpr107
                                        ; kill: killed $vgpr100_vgpr101
                                        ; kill: killed $vgpr94_vgpr95
                                        ; kill: killed $vgpr88_vgpr89
                                        ; kill: killed $vgpr110_vgpr111
                                        ; kill: killed $vgpr104_vgpr105
                                        ; kill: killed $vgpr98_vgpr99
                                        ; kill: killed $vgpr92_vgpr93
                                        ; kill: killed $vgpr86_vgpr87
                                        ; kill: killed $vgpr108_vgpr109
                                        ; kill: killed $vgpr102_vgpr103
                                        ; kill: killed $vgpr96_vgpr97
                                        ; kill: killed $vgpr90_vgpr91
                                        ; kill: killed $vgpr62_vgpr63
                                        ; kill: killed $vgpr64_vgpr65
	global_load_dwordx4 v[62:65], v[112:113], off
	v_or_b32_e32 v85, 0x80, v0
.LBB0_13:
	s_or_b64 exec, exec, s[0:1]
	s_waitcnt vmcnt(17)
	v_add_f64 v[86:87], v[42:43], -v[38:39]
	v_add_f64 v[88:89], v[44:45], -v[40:41]
	v_fma_f64 v[40:41], v[42:43], 2.0, -v[86:87]
	v_fma_f64 v[42:43], v[44:45], 2.0, -v[88:89]
	s_waitcnt vmcnt(15)
	v_add_f64 v[44:45], v[34:35], -v[78:79]
	v_fma_f64 v[34:35], v[34:35], 2.0, -v[44:45]
	v_add_f64 v[80:81], v[36:37], -v[80:81]
	v_add_f64 v[38:39], v[40:41], -v[34:35]
	v_fma_f64 v[78:79], v[40:41], 2.0, -v[38:39]
	v_add_f64 v[40:41], v[80:81], v[86:87]
	v_fma_f64 v[36:37], v[36:37], 2.0, -v[80:81]
	v_fma_f64 v[80:81], v[86:87], 2.0, -v[40:41]
	s_waitcnt vmcnt(13)
	v_add_f64 v[10:11], v[2:3], -v[10:11]
	s_waitcnt vmcnt(12)
	v_add_f64 v[86:87], v[70:71], -v[74:75]
	v_fma_f64 v[2:3], v[2:3], 2.0, -v[10:11]
	v_fma_f64 v[70:71], v[70:71], 2.0, -v[86:87]
	v_add_f64 v[34:35], v[42:43], -v[36:37]
	v_add_f64 v[36:37], v[88:89], -v[44:45]
	;; [unrolled: 1-line block ×4, first 2 shown]
	v_fma_f64 v[44:45], v[88:89], 2.0, -v[36:37]
	v_fma_f64 v[88:89], v[72:73], 2.0, -v[74:75]
	v_add_f64 v[72:73], v[74:75], v[10:11]
	v_fma_f64 v[74:75], v[2:3], 2.0, -v[70:71]
	s_waitcnt vmcnt(9)
	v_add_f64 v[2:3], v[30:31], -v[14:15]
	v_fma_f64 v[76:77], v[10:11], 2.0, -v[72:73]
	v_lshl_add_u32 v94, v0, 5, 0
	v_fma_f64 v[10:11], v[30:31], 2.0, -v[2:3]
	s_waitcnt vmcnt(8)
	v_add_f64 v[30:31], v[54:55], -v[66:67]
	v_add_f64 v[14:15], v[56:57], -v[68:69]
	ds_write_b128 v94, v[78:81]
	v_fma_f64 v[54:55], v[54:55], 2.0, -v[30:31]
	v_fma_f64 v[78:79], v[56:57], 2.0, -v[14:15]
	v_add_f64 v[56:57], v[14:15], v[2:3]
	v_add_f64 v[54:55], v[10:11], -v[54:55]
	v_fma_f64 v[68:69], v[2:3], 2.0, -v[56:57]
	s_waitcnt vmcnt(5)
	v_add_f64 v[2:3], v[26:27], -v[18:19]
	v_fma_f64 v[66:67], v[10:11], 2.0, -v[54:55]
	v_fma_f64 v[10:11], v[26:27], 2.0, -v[2:3]
	s_waitcnt vmcnt(4)
	v_add_f64 v[26:27], v[50:51], -v[58:59]
	v_add_f64 v[14:15], v[52:53], -v[60:61]
	ds_write_b128 v94, v[38:41] offset:16
	v_fma_f64 v[18:19], v[50:51], 2.0, -v[26:27]
	v_add_f64 v[40:41], v[14:15], v[2:3]
	v_fma_f64 v[80:81], v[52:53], 2.0, -v[14:15]
	v_add_f64 v[38:39], v[10:11], -v[18:19]
	v_fma_f64 v[52:53], v[2:3], 2.0, -v[40:41]
	s_waitcnt vmcnt(1)
	v_add_f64 v[2:3], v[6:7], -v[22:23]
	s_waitcnt vmcnt(0)
	v_add_f64 v[90:91], v[46:47], -v[62:63]
	v_fma_f64 v[50:51], v[10:11], 2.0, -v[38:39]
	v_add_f64 v[10:11], v[48:49], -v[64:65]
	v_fma_f64 v[14:15], v[46:47], 2.0, -v[90:91]
	v_fma_f64 v[6:7], v[6:7], 2.0, -v[2:3]
	v_lshl_add_u32 v132, v85, 5, 0
	v_fma_f64 v[92:93], v[48:49], 2.0, -v[10:11]
	v_add_f64 v[46:47], v[6:7], -v[14:15]
	v_add_f64 v[48:49], v[10:11], v[2:3]
	s_movk_i32 s0, 0xffe8
	v_add_f64 v[12:13], v[4:5], -v[12:13]
	v_fma_f64 v[42:43], v[42:43], 2.0, -v[34:35]
	v_fma_f64 v[58:59], v[6:7], 2.0, -v[46:47]
	;; [unrolled: 1-line block ×3, first 2 shown]
	v_lshl_add_u32 v134, v1, 5, 0
	v_lshl_add_u32 v135, v130, 5, 0
	;; [unrolled: 1-line block ×3, first 2 shown]
	v_mad_i32_i24 v133, v0, s0, v94
	v_mad_i32_i24 v137, v85, s0, v132
	v_fma_f64 v[4:5], v[4:5], 2.0, -v[12:13]
	ds_write_b128 v132, v[74:77]
	ds_write_b128 v132, v[70:73] offset:16
	ds_write_b128 v134, v[66:69]
	ds_write_b128 v134, v[54:57] offset:16
	;; [unrolled: 2-line block ×4, first 2 shown]
	s_waitcnt lgkmcnt(0)
	s_barrier
	ds_read2st64_b64 v[38:41], v133 offset1:10
	ds_read2st64_b64 v[46:49], v133 offset0:20 offset1:22
	ds_read2st64_b64 v[50:53], v133 offset0:28 offset1:30
	v_mad_i32_i24 v138, v1, s0, v134
	v_mad_i32_i24 v139, v130, s0, v135
	;; [unrolled: 1-line block ×3, first 2 shown]
	ds_read_b64 v[14:15], v137
	ds_read_b64 v[10:11], v138
	;; [unrolled: 1-line block ×4, first 2 shown]
	ds_read2st64_b64 v[54:57], v133 offset0:12 offset1:14
	ds_read2st64_b64 v[58:61], v133 offset0:32 offset1:34
	;; [unrolled: 1-line block ×5, first 2 shown]
	s_waitcnt lgkmcnt(0)
	s_barrier
	ds_write_b128 v94, v[42:45]
	v_add_f64 v[42:43], v[4:5], -v[88:89]
	v_fma_f64 v[74:75], v[4:5], 2.0, -v[42:43]
	v_add_f64 v[4:5], v[32:33], -v[16:17]
	v_add_f64 v[44:45], v[12:13], -v[86:87]
	;; [unrolled: 1-line block ×3, first 2 shown]
	v_fma_f64 v[76:77], v[12:13], 2.0, -v[44:45]
	v_fma_f64 v[12:13], v[32:33], 2.0, -v[4:5]
	;; [unrolled: 1-line block ×3, first 2 shown]
	v_add_f64 v[4:5], v[28:29], -v[20:21]
	v_add_f64 v[16:17], v[12:13], -v[78:79]
	;; [unrolled: 1-line block ×3, first 2 shown]
	v_fma_f64 v[30:31], v[12:13], 2.0, -v[16:17]
	v_fma_f64 v[12:13], v[28:29], 2.0, -v[4:5]
	;; [unrolled: 1-line block ×3, first 2 shown]
	v_add_f64 v[4:5], v[8:9], -v[24:25]
	v_add_f64 v[20:21], v[12:13], -v[80:81]
	;; [unrolled: 1-line block ×3, first 2 shown]
	v_and_b32_e32 v102, 3, v0
	v_fma_f64 v[8:9], v[8:9], 2.0, -v[4:5]
	v_fma_f64 v[88:89], v[4:5], 2.0, -v[80:81]
	v_mul_u32_u24_e32 v4, 3, v102
	v_fma_f64 v[26:27], v[12:13], 2.0, -v[20:21]
	v_add_f64 v[78:79], v[8:9], -v[92:93]
	v_lshlrev_b32_e32 v4, 4, v4
	v_fma_f64 v[86:87], v[8:9], 2.0, -v[78:79]
	ds_write_b128 v94, v[34:37] offset:16
	ds_write_b128 v132, v[74:77]
	ds_write_b128 v132, v[42:45] offset:16
	ds_write_b128 v134, v[30:33]
	;; [unrolled: 2-line block ×4, first 2 shown]
	ds_write_b128 v136, v[78:81] offset:16
	s_waitcnt lgkmcnt(0)
	s_barrier
	global_load_dwordx4 v[20:23], v4, s[4:5] offset:16
	global_load_dwordx4 v[24:27], v4, s[4:5] offset:32
	global_load_dwordx4 v[28:31], v4, s[4:5]
	ds_read2st64_b64 v[16:19], v133 offset0:20 offset1:22
	ds_read2st64_b64 v[32:35], v133 offset0:28 offset1:30
	;; [unrolled: 1-line block ×4, first 2 shown]
	s_movk_i32 s0, 0x1f0
	v_lshlrev_b32_e32 v103, 2, v0
	v_lshlrev_b32_e32 v105, 2, v85
	;; [unrolled: 1-line block ×5, first 2 shown]
	v_and_b32_e32 v141, 63, v0
	s_mov_b32 s6, 0x134454ff
	s_mov_b32 s7, 0xbfee6f0e
	;; [unrolled: 1-line block ×13, first 2 shown]
	s_waitcnt vmcnt(2) lgkmcnt(3)
	v_mul_f64 v[4:5], v[16:17], v[22:23]
	v_fmac_f64_e32 v[4:5], v[46:47], v[20:21]
	v_mul_f64 v[8:9], v[46:47], v[22:23]
	v_mul_f64 v[46:47], v[18:19], v[22:23]
	v_fma_f64 v[8:9], v[16:17], v[20:21], -v[8:9]
	v_fmac_f64_e32 v[46:47], v[48:49], v[20:21]
	v_mul_f64 v[12:13], v[48:49], v[22:23]
	s_waitcnt vmcnt(1) lgkmcnt(1)
	v_mul_f64 v[48:49], v[42:43], v[26:27]
	v_mul_f64 v[16:17], v[58:59], v[26:27]
	;; [unrolled: 1-line block ×3, first 2 shown]
	v_fmac_f64_e32 v[48:49], v[58:59], v[24:25]
	v_fma_f64 v[58:59], v[42:43], v[24:25], -v[16:17]
	v_fmac_f64_e32 v[78:79], v[60:61], v[24:25]
	v_mul_f64 v[16:17], v[60:61], v[26:27]
	s_waitcnt lgkmcnt(0)
	v_mul_f64 v[60:61], v[74:75], v[22:23]
	v_fmac_f64_e32 v[60:61], v[62:63], v[20:21]
	v_fma_f64 v[80:81], v[44:45], v[24:25], -v[16:17]
	v_mul_f64 v[16:17], v[62:63], v[22:23]
	v_mul_f64 v[62:63], v[76:77], v[22:23]
	;; [unrolled: 1-line block ×3, first 2 shown]
	v_fma_f64 v[12:13], v[18:19], v[20:21], -v[12:13]
	v_fmac_f64_e32 v[62:63], v[64:65], v[20:21]
	v_fma_f64 v[18:19], v[74:75], v[20:21], -v[16:17]
	v_fma_f64 v[16:17], v[76:77], v[20:21], -v[42:43]
	v_mul_f64 v[64:65], v[32:33], v[22:23]
	ds_read2st64_b64 v[42:45], v133 offset0:36 offset1:38
	v_mul_f64 v[22:23], v[50:51], v[22:23]
	v_fmac_f64_e32 v[64:65], v[50:51], v[20:21]
	v_fma_f64 v[74:75], v[32:33], v[20:21], -v[22:23]
	ds_read2st64_b64 v[20:23], v133 offset0:12 offset1:14
	v_mul_f64 v[36:37], v[34:35], v[26:27]
	v_fmac_f64_e32 v[36:37], v[52:53], v[24:25]
	v_mul_f64 v[52:53], v[52:53], v[26:27]
	v_fma_f64 v[34:35], v[34:35], v[24:25], -v[52:53]
	s_waitcnt lgkmcnt(1)
	v_mul_f64 v[32:33], v[42:43], v[26:27]
	v_mul_f64 v[50:51], v[70:71], v[26:27]
	;; [unrolled: 1-line block ×4, first 2 shown]
	v_fmac_f64_e32 v[32:33], v[70:71], v[24:25]
	v_fmac_f64_e32 v[52:53], v[72:73], v[24:25]
	v_fma_f64 v[42:43], v[42:43], v[24:25], -v[50:51]
	v_fma_f64 v[44:45], v[44:45], v[24:25], -v[26:27]
	s_waitcnt vmcnt(0) lgkmcnt(0)
	v_mul_f64 v[50:51], v[20:21], v[30:31]
	v_mul_f64 v[70:71], v[22:23], v[30:31]
	ds_read2st64_b64 v[24:27], v133 offset0:16 offset1:18
	v_fmac_f64_e32 v[50:51], v[54:55], v[28:29]
	v_mul_f64 v[54:55], v[54:55], v[30:31]
	v_fmac_f64_e32 v[70:71], v[56:57], v[28:29]
	v_mul_f64 v[56:57], v[56:57], v[30:31]
	v_fma_f64 v[54:55], v[20:21], v[28:29], -v[54:55]
	v_fma_f64 v[56:57], v[22:23], v[28:29], -v[56:57]
	ds_read2st64_b64 v[20:23], v133 offset1:10
	s_waitcnt lgkmcnt(1)
	v_mul_f64 v[72:73], v[24:25], v[30:31]
	v_fmac_f64_e32 v[72:73], v[66:67], v[28:29]
	v_mul_f64 v[76:77], v[26:27], v[30:31]
	v_mul_f64 v[66:67], v[66:67], v[30:31]
	v_fmac_f64_e32 v[76:77], v[68:69], v[28:29]
	v_mul_f64 v[68:69], v[68:69], v[30:31]
	v_fma_f64 v[66:67], v[24:25], v[28:29], -v[66:67]
	s_waitcnt lgkmcnt(0)
	v_mul_f64 v[24:25], v[22:23], v[30:31]
	v_fma_f64 v[68:69], v[26:27], v[28:29], -v[68:69]
	v_fmac_f64_e32 v[24:25], v[40:41], v[28:29]
	v_mul_f64 v[26:27], v[40:41], v[30:31]
	v_fma_f64 v[22:23], v[22:23], v[28:29], -v[26:27]
	v_add_f64 v[4:5], v[38:39], -v[4:5]
	v_add_f64 v[28:29], v[24:25], -v[36:37]
	v_fma_f64 v[26:27], v[38:39], 2.0, -v[4:5]
	v_add_f64 v[30:31], v[22:23], -v[34:35]
	v_fma_f64 v[24:25], v[24:25], 2.0, -v[28:29]
	v_add_f64 v[24:25], v[26:27], -v[24:25]
	v_add_f64 v[34:35], v[4:5], v[30:31]
	v_and_or_b32 v36, v103, s0, v102
	v_fma_f64 v[26:27], v[26:27], 2.0, -v[24:25]
	v_fma_f64 v[4:5], v[4:5], 2.0, -v[34:35]
	v_lshl_add_u32 v104, v36, 3, 0
	ds_read_b64 v[86:87], v137
	ds_read_b64 v[88:89], v138
	;; [unrolled: 1-line block ×4, first 2 shown]
	s_waitcnt lgkmcnt(0)
	s_barrier
	ds_write2_b64 v104, v[26:27], v[4:5] offset1:4
	ds_write2_b64 v104, v[24:25], v[34:35] offset0:8 offset1:12
	v_add_f64 v[4:5], v[14:15], -v[46:47]
	v_add_f64 v[94:95], v[50:51], -v[48:49]
	v_fma_f64 v[14:15], v[14:15], 2.0, -v[4:5]
	v_add_f64 v[58:59], v[54:55], -v[58:59]
	v_fma_f64 v[24:25], v[50:51], 2.0, -v[94:95]
	s_movk_i32 s0, 0x3f0
	v_add_f64 v[24:25], v[14:15], -v[24:25]
	v_add_f64 v[26:27], v[4:5], v[58:59]
	v_and_or_b32 v34, v105, s0, v102
	v_fma_f64 v[14:15], v[14:15], 2.0, -v[24:25]
	v_fma_f64 v[4:5], v[4:5], 2.0, -v[26:27]
	v_lshl_add_u32 v106, v34, 3, 0
	ds_write2_b64 v106, v[14:15], v[4:5] offset1:4
	v_add_f64 v[4:5], v[20:21], -v[8:9]
	v_fma_f64 v[8:9], v[20:21], 2.0, -v[4:5]
	v_fma_f64 v[14:15], v[22:23], 2.0, -v[30:31]
	v_add_f64 v[98:99], v[4:5], -v[28:29]
	v_add_f64 v[14:15], v[8:9], -v[14:15]
	v_fma_f64 v[100:101], v[4:5], 2.0, -v[98:99]
	v_add_f64 v[4:5], v[10:11], -v[60:61]
	v_fma_f64 v[96:97], v[8:9], 2.0, -v[14:15]
	v_fma_f64 v[8:9], v[10:11], 2.0, -v[4:5]
	v_add_f64 v[10:11], v[70:71], -v[78:79]
	v_add_f64 v[60:61], v[56:57], -v[80:81]
	v_fma_f64 v[20:21], v[70:71], 2.0, -v[10:11]
	s_movk_i32 s0, 0x5f0
	v_add_f64 v[20:21], v[8:9], -v[20:21]
	ds_write2_b64 v106, v[24:25], v[26:27] offset0:8 offset1:12
	v_add_f64 v[22:23], v[4:5], v[60:61]
	v_add_f64 v[24:25], v[6:7], -v[62:63]
	v_add_f64 v[62:63], v[72:73], -v[32:33]
	v_and_or_b32 v28, v107, s0, v102
	v_fma_f64 v[8:9], v[8:9], 2.0, -v[20:21]
	v_fma_f64 v[4:5], v[4:5], 2.0, -v[22:23]
	v_add_f64 v[70:71], v[66:67], -v[42:43]
	v_fma_f64 v[26:27], v[72:73], 2.0, -v[62:63]
	v_lshl_add_u32 v72, v28, 3, 0
	v_fma_f64 v[6:7], v[6:7], 2.0, -v[24:25]
	ds_write2_b64 v72, v[8:9], v[4:5] offset1:4
	v_add_f64 v[4:5], v[24:25], v[70:71]
	s_movk_i32 s0, 0x7f0
	v_add_f64 v[26:27], v[6:7], -v[26:27]
	v_fma_f64 v[8:9], v[24:25], 2.0, -v[4:5]
	v_add_f64 v[24:25], v[2:3], -v[64:65]
	v_add_f64 v[64:65], v[76:77], -v[52:53]
	ds_write2_b64 v72, v[20:21], v[22:23] offset0:8 offset1:12
	v_and_or_b32 v20, v108, s0, v102
	v_fma_f64 v[6:7], v[6:7], 2.0, -v[26:27]
	v_fma_f64 v[2:3], v[2:3], 2.0, -v[24:25]
	v_add_f64 v[44:45], v[68:69], -v[44:45]
	v_fma_f64 v[28:29], v[76:77], 2.0, -v[64:65]
	v_lshl_add_u32 v73, v20, 3, 0
	s_movk_i32 s0, 0x9f0
	v_add_f64 v[28:29], v[2:3], -v[28:29]
	v_add_f64 v[30:31], v[24:25], v[44:45]
	ds_write2_b64 v73, v[6:7], v[8:9] offset1:4
	ds_write2_b64 v73, v[26:27], v[4:5] offset0:8 offset1:12
	v_and_or_b32 v4, v109, s0, v102
	v_fma_f64 v[2:3], v[2:3], 2.0, -v[28:29]
	v_fma_f64 v[24:25], v[24:25], 2.0, -v[30:31]
	v_lshl_add_u32 v76, v4, 3, 0
	v_add_f64 v[12:13], v[86:87], -v[12:13]
	ds_write2_b64 v76, v[2:3], v[24:25] offset1:4
	ds_write2_b64 v76, v[28:29], v[30:31] offset0:8 offset1:12
	s_waitcnt lgkmcnt(0)
	s_barrier
	ds_read2st64_b64 v[20:23], v133 offset1:10
	ds_read2st64_b64 v[24:27], v133 offset0:20 offset1:22
	ds_read2st64_b64 v[28:31], v133 offset0:28 offset1:30
	ds_read_b64 v[8:9], v137
	ds_read_b64 v[6:7], v138
	;; [unrolled: 1-line block ×4, first 2 shown]
	ds_read2st64_b64 v[32:35], v133 offset0:12 offset1:14
	ds_read2st64_b64 v[36:39], v133 offset0:32 offset1:34
	;; [unrolled: 1-line block ×5, first 2 shown]
	s_waitcnt lgkmcnt(0)
	s_barrier
	ds_write2_b64 v104, v[96:97], v[100:101] offset1:4
	ds_write2_b64 v104, v[14:15], v[98:99] offset0:8 offset1:12
	v_fma_f64 v[14:15], v[54:55], 2.0, -v[58:59]
	v_fma_f64 v[54:55], v[86:87], 2.0, -v[12:13]
	v_add_f64 v[14:15], v[54:55], -v[14:15]
	v_add_f64 v[58:59], v[12:13], -v[94:95]
	v_fma_f64 v[54:55], v[54:55], 2.0, -v[14:15]
	v_fma_f64 v[12:13], v[12:13], 2.0, -v[58:59]
	ds_write2_b64 v106, v[54:55], v[12:13] offset1:4
	v_fma_f64 v[54:55], v[66:67], 2.0, -v[70:71]
	v_add_f64 v[18:19], v[88:89], -v[18:19]
	v_add_f64 v[16:17], v[90:91], -v[16:17]
	;; [unrolled: 1-line block ×3, first 2 shown]
	v_fma_f64 v[12:13], v[56:57], 2.0, -v[60:61]
	v_fma_f64 v[44:45], v[68:69], 2.0, -v[44:45]
	;; [unrolled: 1-line block ×5, first 2 shown]
	v_add_f64 v[12:13], v[56:57], -v[12:13]
	v_add_f64 v[10:11], v[18:19], -v[10:11]
	;; [unrolled: 1-line block ×6, first 2 shown]
	v_and_b32_e32 v98, 15, v0
	v_fma_f64 v[56:57], v[56:57], 2.0, -v[12:13]
	v_fma_f64 v[18:19], v[18:19], 2.0, -v[10:11]
	;; [unrolled: 1-line block ×6, first 2 shown]
	ds_write2_b64 v106, v[14:15], v[58:59] offset0:8 offset1:12
	ds_write2_b64 v72, v[56:57], v[18:19] offset1:4
	ds_write2_b64 v72, v[12:13], v[10:11] offset0:8 offset1:12
	ds_write2_b64 v73, v[60:61], v[16:17] offset1:4
	;; [unrolled: 2-line block ×3, first 2 shown]
	ds_write2_b64 v76, v[44:45], v[64:65] offset0:8 offset1:12
	v_mul_u32_u24_e32 v10, 3, v98
	v_lshlrev_b32_e32 v10, 4, v10
	s_waitcnt lgkmcnt(0)
	s_barrier
	global_load_dwordx4 v[14:17], v10, s[4:5] offset:208
	global_load_dwordx4 v[54:57], v10, s[4:5] offset:224
	;; [unrolled: 1-line block ×3, first 2 shown]
	ds_read2st64_b64 v[10:13], v133 offset0:20 offset1:22
	ds_read2st64_b64 v[62:65], v133 offset0:28 offset1:30
	;; [unrolled: 1-line block ×3, first 2 shown]
	s_movk_i32 s0, 0x1c0
	s_waitcnt vmcnt(2) lgkmcnt(2)
	v_mul_f64 v[18:19], v[10:11], v[16:17]
	v_fmac_f64_e32 v[18:19], v[24:25], v[14:15]
	v_mul_f64 v[24:25], v[24:25], v[16:17]
	v_fma_f64 v[70:71], v[10:11], v[14:15], -v[24:25]
	v_mul_f64 v[10:11], v[26:27], v[16:17]
	s_waitcnt lgkmcnt(0)
	v_mul_f64 v[76:77], v[66:67], v[16:17]
	v_mul_f64 v[74:75], v[12:13], v[16:17]
	v_fma_f64 v[10:11], v[12:13], v[14:15], -v[10:11]
	v_fmac_f64_e32 v[76:77], v[40:41], v[14:15]
	v_mul_f64 v[12:13], v[40:41], v[16:17]
	v_mul_f64 v[40:41], v[68:69], v[16:17]
	;; [unrolled: 1-line block ×3, first 2 shown]
	v_fmac_f64_e32 v[74:75], v[26:27], v[14:15]
	v_fmac_f64_e32 v[40:41], v[42:43], v[14:15]
	v_fma_f64 v[42:43], v[66:67], v[14:15], -v[12:13]
	v_fma_f64 v[12:13], v[68:69], v[14:15], -v[24:25]
	ds_read2st64_b64 v[24:27], v133 offset0:32 offset1:34
	s_waitcnt vmcnt(1)
	v_mul_f64 v[72:73], v[64:65], v[56:57]
	v_fmac_f64_e32 v[72:73], v[30:31], v[54:55]
	v_mul_f64 v[30:31], v[30:31], v[56:57]
	v_mul_f64 v[66:67], v[62:63], v[16:17]
	;; [unrolled: 1-line block ×3, first 2 shown]
	v_fmac_f64_e32 v[66:67], v[28:29], v[14:15]
	v_fma_f64 v[28:29], v[64:65], v[54:55], -v[30:31]
	v_fma_f64 v[44:45], v[62:63], v[14:15], -v[16:17]
	s_waitcnt lgkmcnt(0)
	v_mul_f64 v[30:31], v[24:25], v[56:57]
	v_mul_f64 v[62:63], v[26:27], v[56:57]
	ds_read2st64_b64 v[14:17], v133 offset0:36 offset1:38
	v_fmac_f64_e32 v[30:31], v[36:37], v[54:55]
	v_mul_f64 v[36:37], v[36:37], v[56:57]
	v_fmac_f64_e32 v[62:63], v[38:39], v[54:55]
	v_mul_f64 v[38:39], v[38:39], v[56:57]
	v_fma_f64 v[36:37], v[24:25], v[54:55], -v[36:37]
	v_fma_f64 v[38:39], v[26:27], v[54:55], -v[38:39]
	ds_read2st64_b64 v[24:27], v133 offset0:12 offset1:14
	s_waitcnt lgkmcnt(1)
	v_mul_f64 v[64:65], v[14:15], v[56:57]
	v_mul_f64 v[68:69], v[16:17], v[56:57]
	v_fmac_f64_e32 v[64:65], v[50:51], v[54:55]
	v_fmac_f64_e32 v[68:69], v[52:53], v[54:55]
	v_mul_f64 v[50:51], v[50:51], v[56:57]
	v_mul_f64 v[52:53], v[52:53], v[56:57]
	v_fma_f64 v[50:51], v[14:15], v[54:55], -v[50:51]
	v_fma_f64 v[52:53], v[16:17], v[54:55], -v[52:53]
	s_waitcnt vmcnt(0) lgkmcnt(0)
	v_mul_f64 v[54:55], v[24:25], v[60:61]
	v_mul_f64 v[56:57], v[26:27], v[60:61]
	ds_read2st64_b64 v[14:17], v133 offset0:16 offset1:18
	v_fmac_f64_e32 v[54:55], v[32:33], v[58:59]
	v_fmac_f64_e32 v[56:57], v[34:35], v[58:59]
	v_mul_f64 v[32:33], v[32:33], v[60:61]
	v_mul_f64 v[34:35], v[34:35], v[60:61]
	v_fma_f64 v[78:79], v[24:25], v[58:59], -v[32:33]
	v_fma_f64 v[80:81], v[26:27], v[58:59], -v[34:35]
	ds_read2st64_b64 v[24:27], v133 offset1:10
	s_waitcnt lgkmcnt(1)
	v_mul_f64 v[32:33], v[14:15], v[60:61]
	v_fmac_f64_e32 v[32:33], v[46:47], v[58:59]
	v_mul_f64 v[34:35], v[16:17], v[60:61]
	v_mul_f64 v[46:47], v[46:47], v[60:61]
	v_fmac_f64_e32 v[34:35], v[48:49], v[58:59]
	v_mul_f64 v[48:49], v[48:49], v[60:61]
	v_fma_f64 v[46:47], v[14:15], v[58:59], -v[46:47]
	s_waitcnt lgkmcnt(0)
	v_mul_f64 v[14:15], v[26:27], v[60:61]
	v_fma_f64 v[48:49], v[16:17], v[58:59], -v[48:49]
	v_fmac_f64_e32 v[14:15], v[22:23], v[58:59]
	v_mul_f64 v[16:17], v[22:23], v[60:61]
	v_fma_f64 v[16:17], v[26:27], v[58:59], -v[16:17]
	v_add_f64 v[18:19], v[20:21], -v[18:19]
	v_add_f64 v[22:23], v[14:15], -v[72:73]
	v_fma_f64 v[20:21], v[20:21], 2.0, -v[18:19]
	v_add_f64 v[26:27], v[16:17], -v[28:29]
	v_fma_f64 v[14:15], v[14:15], 2.0, -v[22:23]
	v_add_f64 v[14:15], v[20:21], -v[14:15]
	v_add_f64 v[28:29], v[18:19], v[26:27]
	v_and_or_b32 v58, v103, s0, v98
	v_fma_f64 v[20:21], v[20:21], 2.0, -v[14:15]
	v_fma_f64 v[18:19], v[18:19], 2.0, -v[28:29]
	v_lshl_add_u32 v99, v58, 3, 0
	ds_read_b64 v[72:73], v137
	ds_read_b64 v[86:87], v138
	;; [unrolled: 1-line block ×4, first 2 shown]
	s_waitcnt lgkmcnt(0)
	s_barrier
	ds_write2_b64 v99, v[20:21], v[18:19] offset1:16
	ds_write2_b64 v99, v[14:15], v[28:29] offset0:32 offset1:48
	v_add_f64 v[14:15], v[8:9], -v[74:75]
	v_add_f64 v[74:75], v[54:55], -v[30:31]
	v_fma_f64 v[8:9], v[8:9], 2.0, -v[14:15]
	v_add_f64 v[92:93], v[78:79], -v[36:37]
	v_fma_f64 v[18:19], v[54:55], 2.0, -v[74:75]
	s_movk_i32 s0, 0x3c0
	v_add_f64 v[18:19], v[8:9], -v[18:19]
	v_add_f64 v[20:21], v[14:15], v[92:93]
	v_and_or_b32 v28, v105, s0, v98
	v_fma_f64 v[8:9], v[8:9], 2.0, -v[18:19]
	v_fma_f64 v[14:15], v[14:15], 2.0, -v[20:21]
	v_lshl_add_u32 v100, v28, 3, 0
	ds_write2_b64 v100, v[8:9], v[14:15] offset1:16
	v_add_f64 v[8:9], v[24:25], -v[70:71]
	v_fma_f64 v[14:15], v[24:25], 2.0, -v[8:9]
	v_fma_f64 v[16:17], v[16:17], 2.0, -v[26:27]
	v_add_f64 v[54:55], v[14:15], -v[16:17]
	v_fma_f64 v[70:71], v[14:15], 2.0, -v[54:55]
	v_add_f64 v[14:15], v[6:7], -v[76:77]
	v_add_f64 v[76:77], v[56:57], -v[62:63]
	v_fma_f64 v[6:7], v[6:7], 2.0, -v[14:15]
	v_add_f64 v[96:97], v[80:81], -v[38:39]
	v_fma_f64 v[16:17], v[56:57], 2.0, -v[76:77]
	v_add_f64 v[56:57], v[32:33], -v[64:65]
	s_movk_i32 s0, 0x5c0
	v_add_f64 v[94:95], v[8:9], -v[22:23]
	v_add_f64 v[16:17], v[6:7], -v[16:17]
	v_add_f64 v[22:23], v[14:15], v[96:97]
	v_add_f64 v[24:25], v[4:5], -v[40:41]
	v_add_f64 v[50:51], v[46:47], -v[50:51]
	v_fma_f64 v[26:27], v[32:33], 2.0, -v[56:57]
	v_and_or_b32 v32, v107, s0, v98
	v_fma_f64 v[6:7], v[6:7], 2.0, -v[16:17]
	v_fma_f64 v[14:15], v[14:15], 2.0, -v[22:23]
	;; [unrolled: 1-line block ×3, first 2 shown]
	ds_write2_b64 v100, v[18:19], v[20:21] offset0:32 offset1:48
	v_add_f64 v[18:19], v[24:25], v[50:51]
	v_lshl_add_u32 v101, v32, 3, 0
	s_movk_i32 s0, 0x7c0
	v_add_f64 v[26:27], v[4:5], -v[26:27]
	v_fma_f64 v[20:21], v[24:25], 2.0, -v[18:19]
	v_add_f64 v[24:25], v[2:3], -v[66:67]
	v_add_f64 v[66:67], v[34:35], -v[68:69]
	ds_write2_b64 v101, v[6:7], v[14:15] offset1:16
	ds_write2_b64 v101, v[16:17], v[22:23] offset0:32 offset1:48
	v_and_or_b32 v6, v108, s0, v98
	v_fma_f64 v[4:5], v[4:5], 2.0, -v[26:27]
	v_fma_f64 v[2:3], v[2:3], 2.0, -v[24:25]
	v_add_f64 v[52:53], v[48:49], -v[52:53]
	v_fma_f64 v[28:29], v[34:35], 2.0, -v[66:67]
	v_lshl_add_u32 v102, v6, 3, 0
	s_movk_i32 s0, 0x9c0
	v_add_f64 v[28:29], v[2:3], -v[28:29]
	v_add_f64 v[30:31], v[24:25], v[52:53]
	ds_write2_b64 v102, v[4:5], v[20:21] offset1:16
	ds_write2_b64 v102, v[26:27], v[18:19] offset0:32 offset1:48
	v_and_or_b32 v4, v109, s0, v98
	v_add_f64 v[10:11], v[72:73], -v[10:11]
	v_fma_f64 v[8:9], v[8:9], 2.0, -v[94:95]
	v_fma_f64 v[2:3], v[2:3], 2.0, -v[28:29]
	v_fma_f64 v[24:25], v[24:25], 2.0, -v[30:31]
	v_lshl_add_u32 v98, v4, 3, 0
	v_fma_f64 v[6:7], v[78:79], 2.0, -v[92:93]
	v_fma_f64 v[46:47], v[46:47], 2.0, -v[50:51]
	;; [unrolled: 1-line block ×3, first 2 shown]
	v_add_f64 v[42:43], v[86:87], -v[42:43]
	v_add_f64 v[12:13], v[88:89], -v[12:13]
	;; [unrolled: 1-line block ×3, first 2 shown]
	ds_write2_b64 v98, v[2:3], v[24:25] offset1:16
	ds_write2_b64 v98, v[28:29], v[30:31] offset0:32 offset1:48
	s_waitcnt lgkmcnt(0)
	s_barrier
	ds_read2st64_b64 v[2:5], v133 offset1:6
	ds_read2st64_b64 v[38:41], v133 offset0:10 offset1:12
	ds_read2st64_b64 v[34:37], v133 offset0:14 offset1:16
	;; [unrolled: 1-line block ×3, first 2 shown]
	ds_read_b64 v[60:61], v140
	ds_read_b64 v[62:63], v138
	;; [unrolled: 1-line block ×3, first 2 shown]
	ds_read_b64 v[64:65], v133 offset:19456
	ds_read2st64_b64 v[30:33], v133 offset0:22 offset1:24
	ds_read2st64_b64 v[22:25], v133 offset0:26 offset1:28
	;; [unrolled: 1-line block ×4, first 2 shown]
	s_waitcnt lgkmcnt(0)
	s_barrier
	ds_write2_b64 v99, v[70:71], v[8:9] offset1:16
	ds_write2_b64 v99, v[54:55], v[94:95] offset0:32 offset1:48
	v_fma_f64 v[8:9], v[80:81], 2.0, -v[96:97]
	v_add_f64 v[6:7], v[50:51], -v[6:7]
	v_add_f64 v[54:55], v[10:11], -v[74:75]
	v_fma_f64 v[68:69], v[86:87], 2.0, -v[42:43]
	v_fma_f64 v[72:73], v[88:89], 2.0, -v[12:13]
	;; [unrolled: 1-line block ×6, first 2 shown]
	v_add_f64 v[8:9], v[68:69], -v[8:9]
	v_add_f64 v[70:71], v[42:43], -v[76:77]
	;; [unrolled: 1-line block ×6, first 2 shown]
	v_fma_f64 v[68:69], v[68:69], 2.0, -v[8:9]
	v_fma_f64 v[42:43], v[42:43], 2.0, -v[70:71]
	;; [unrolled: 1-line block ×6, first 2 shown]
	ds_write2_b64 v100, v[50:51], v[10:11] offset1:16
	ds_write2_b64 v100, v[6:7], v[54:55] offset0:32 offset1:48
	ds_write2_b64 v101, v[68:69], v[42:43] offset1:16
	ds_write2_b64 v101, v[8:9], v[70:71] offset0:32 offset1:48
	;; [unrolled: 2-line block ×4, first 2 shown]
	v_mul_u32_u24_e32 v6, 9, v141
	v_lshlrev_b32_e32 v66, 4, v6
	s_waitcnt lgkmcnt(0)
	s_barrier
	global_load_dwordx4 v[50:53], v66, s[4:5] offset:976
	global_load_dwordx4 v[46:49], v66, s[4:5] offset:992
	;; [unrolled: 1-line block ×9, first 2 shown]
	ds_read_b64 v[66:67], v140
	ds_read2st64_b64 v[72:75], v133 offset0:10 offset1:12
	ds_read_b64 v[92:93], v138
	ds_read2st64_b64 v[76:79], v133 offset0:14 offset1:16
	ds_read2st64_b64 v[102:105], v133 offset0:18 offset1:20
	;; [unrolled: 1-line block ×3, first 2 shown]
	s_mov_b32 s0, 0x4755a5e
	s_mov_b32 s1, 0xbfe2cf23
	;; [unrolled: 1-line block ×3, first 2 shown]
	s_waitcnt vmcnt(8) lgkmcnt(5)
	v_mul_f64 v[68:69], v[66:67], v[52:53]
	v_fmac_f64_e32 v[68:69], v[60:61], v[50:51]
	v_mul_f64 v[60:61], v[60:61], v[52:53]
	v_fma_f64 v[66:67], v[66:67], v[50:51], -v[60:61]
	s_waitcnt lgkmcnt(4)
	v_mul_f64 v[60:61], v[72:73], v[52:53]
	v_fmac_f64_e32 v[60:61], v[38:39], v[50:51]
	v_mul_f64 v[38:39], v[38:39], v[52:53]
	v_fma_f64 v[50:51], v[72:73], v[50:51], -v[38:39]
	s_waitcnt vmcnt(7)
	v_mul_f64 v[38:39], v[40:41], v[48:49]
	v_fma_f64 v[70:71], v[74:75], v[46:47], -v[38:39]
	s_waitcnt lgkmcnt(2)
	v_mul_f64 v[38:39], v[76:77], v[48:49]
	v_mul_f64 v[72:73], v[74:75], v[48:49]
	v_fmac_f64_e32 v[38:39], v[34:35], v[46:47]
	v_mul_f64 v[34:35], v[34:35], v[48:49]
	v_fmac_f64_e32 v[72:73], v[40:41], v[46:47]
	v_fma_f64 v[34:35], v[76:77], v[46:47], -v[34:35]
	s_waitcnt vmcnt(6)
	v_mul_f64 v[76:77], v[78:79], v[44:45]
	s_waitcnt lgkmcnt(1)
	v_mul_f64 v[40:41], v[102:103], v[44:45]
	v_fmac_f64_e32 v[76:77], v[36:37], v[42:43]
	v_mul_f64 v[36:37], v[36:37], v[44:45]
	v_fmac_f64_e32 v[40:41], v[26:27], v[42:43]
	v_mul_f64 v[26:27], v[26:27], v[44:45]
	v_fma_f64 v[46:47], v[78:79], v[42:43], -v[36:37]
	v_fma_f64 v[36:37], v[102:103], v[42:43], -v[26:27]
	s_waitcnt vmcnt(5)
	v_mul_f64 v[78:79], v[104:105], v[88:89]
	v_mul_f64 v[26:27], v[28:29], v[88:89]
	v_fmac_f64_e32 v[78:79], v[28:29], v[86:87]
	v_fma_f64 v[42:43], v[104:105], v[86:87], -v[26:27]
	s_waitcnt lgkmcnt(0)
	v_mul_f64 v[28:29], v[106:107], v[88:89]
	v_mul_f64 v[26:27], v[30:31], v[88:89]
	v_fmac_f64_e32 v[28:29], v[30:31], v[86:87]
	v_fma_f64 v[26:27], v[106:107], v[86:87], -v[26:27]
	ds_read2st64_b64 v[86:89], v133 offset0:26 offset1:28
	s_waitcnt vmcnt(4)
	v_mul_f64 v[80:81], v[108:109], v[56:57]
	v_fmac_f64_e32 v[80:81], v[32:33], v[54:55]
	v_mul_f64 v[30:31], v[32:33], v[56:57]
	v_fma_f64 v[44:45], v[108:109], v[54:55], -v[30:31]
	s_waitcnt lgkmcnt(0)
	v_mul_f64 v[32:33], v[86:87], v[56:57]
	v_fmac_f64_e32 v[32:33], v[22:23], v[54:55]
	v_mul_f64 v[22:23], v[22:23], v[56:57]
	v_fma_f64 v[30:31], v[86:87], v[54:55], -v[22:23]
	ds_read2st64_b64 v[52:55], v133 offset0:30 offset1:32
	s_waitcnt vmcnt(3)
	v_mul_f64 v[86:87], v[88:89], v[96:97]
	v_mul_f64 v[22:23], v[24:25], v[96:97]
	v_fmac_f64_e32 v[86:87], v[24:25], v[94:95]
	v_fma_f64 v[24:25], v[88:89], v[94:95], -v[22:23]
	s_waitcnt lgkmcnt(0)
	v_mul_f64 v[22:23], v[52:53], v[96:97]
	v_fmac_f64_e32 v[22:23], v[18:19], v[94:95]
	v_mul_f64 v[18:19], v[18:19], v[96:97]
	s_waitcnt vmcnt(2)
	v_mul_f64 v[88:89], v[54:55], v[100:101]
	v_fma_f64 v[18:19], v[52:53], v[94:95], -v[18:19]
	ds_read2st64_b64 v[94:97], v133 offset0:34 offset1:36
	v_fmac_f64_e32 v[88:89], v[20:21], v[98:99]
	v_mul_f64 v[20:21], v[20:21], v[100:101]
	v_fma_f64 v[48:49], v[54:55], v[98:99], -v[20:21]
	ds_read_b64 v[54:55], v133 offset:19456
	ds_read_b64 v[52:53], v137
	s_waitcnt vmcnt(1) lgkmcnt(2)
	v_mul_f64 v[90:91], v[96:97], v[12:13]
	v_fmac_f64_e32 v[90:91], v[16:17], v[10:11]
	v_mul_f64 v[16:17], v[16:17], v[12:13]
	s_waitcnt lgkmcnt(1)
	v_mul_f64 v[74:75], v[54:55], v[12:13]
	v_mul_f64 v[12:13], v[64:65], v[12:13]
	v_fma_f64 v[12:13], v[54:55], v[10:11], -v[12:13]
	ds_read2st64_b64 v[54:57], v133 offset1:6
	v_fma_f64 v[16:17], v[96:97], v[10:11], -v[16:17]
	v_fmac_f64_e32 v[74:75], v[64:65], v[10:11]
	s_waitcnt vmcnt(0)
	v_mul_f64 v[10:11], v[62:63], v[8:9]
	v_fma_f64 v[124:125], v[92:93], v[6:7], -v[10:11]
	s_waitcnt lgkmcnt(0)
	v_mul_f64 v[10:11], v[56:57], v[8:9]
	v_mul_f64 v[108:109], v[92:93], v[8:9]
	v_fmac_f64_e32 v[10:11], v[4:5], v[6:7]
	v_mul_f64 v[4:5], v[4:5], v[8:9]
	v_fmac_f64_e32 v[108:109], v[62:63], v[6:7]
	v_fma_f64 v[4:5], v[56:57], v[6:7], -v[4:5]
	v_add_f64 v[6:7], v[76:77], v[80:81]
	v_fma_f64 v[8:9], -0.5, v[6:7], v[2:3]
	v_add_f64 v[6:7], v[68:69], v[88:89]
	v_add_f64 v[142:143], v[2:3], v[68:69]
	v_fmac_f64_e32 v[2:3], -0.5, v[6:7]
	v_add_f64 v[6:7], v[76:77], -v[68:69]
	v_add_f64 v[56:57], v[80:81], -v[88:89]
	v_add_f64 v[104:105], v[6:7], v[56:57]
	v_add_f64 v[6:7], v[78:79], v[86:87]
	v_mul_f64 v[20:21], v[94:95], v[100:101]
	v_fma_f64 v[62:63], -0.5, v[6:7], v[108:109]
	v_add_f64 v[6:7], v[72:73], v[90:91]
	v_fmac_f64_e32 v[20:21], v[14:15], v[98:99]
	v_mul_f64 v[14:15], v[14:15], v[100:101]
	v_add_f64 v[144:145], v[108:109], v[72:73]
	v_fmac_f64_e32 v[108:109], -0.5, v[6:7]
	v_add_f64 v[6:7], v[78:79], -v[72:73]
	v_add_f64 v[56:57], v[86:87], -v[90:91]
	v_fma_f64 v[14:15], v[94:95], v[98:99], -v[14:15]
	v_add_f64 v[94:95], v[6:7], v[56:57]
	v_add_f64 v[6:7], v[42:43], v[24:25]
	v_fma_f64 v[64:65], -0.5, v[6:7], v[124:125]
	v_add_f64 v[6:7], v[70:71], v[16:17]
	v_add_f64 v[98:99], v[124:125], v[70:71]
	v_fmac_f64_e32 v[124:125], -0.5, v[6:7]
	v_add_f64 v[110:111], v[78:79], -v[86:87]
	v_add_f64 v[6:7], v[42:43], -v[70:71]
	;; [unrolled: 1-line block ×3, first 2 shown]
	v_fma_f64 v[106:107], s[6:7], v[110:111], v[124:125]
	v_fmac_f64_e32 v[124:125], s[8:9], v[110:111]
	v_add_f64 v[112:113], v[72:73], -v[90:91]
	v_add_f64 v[96:97], v[6:7], v[56:57]
	v_fmac_f64_e32 v[124:125], s[0:1], v[112:113]
	v_fmac_f64_e32 v[124:125], s[10:11], v[96:97]
	v_add_f64 v[142:143], v[142:143], v[76:77]
	v_add_f64 v[114:115], v[42:43], -v[24:25]
	v_mul_f64 v[56:57], v[124:125], s[6:7]
	v_mul_f64 v[146:147], v[124:125], s[12:13]
	v_add_f64 v[126:127], v[76:77], -v[80:81]
	v_add_f64 v[124:125], v[68:69], -v[88:89]
	;; [unrolled: 1-line block ×3, first 2 shown]
	v_add_f64 v[68:69], v[142:143], v[80:81]
	v_add_f64 v[80:81], v[88:89], -v[80:81]
	v_add_f64 v[118:119], v[46:47], -v[44:45]
	v_fma_f64 v[102:103], s[8:9], v[114:115], v[108:109]
	v_fmac_f64_e32 v[108:109], s[6:7], v[114:115]
	v_add_f64 v[116:117], v[70:71], -v[16:17]
	v_add_f64 v[80:81], v[76:77], v[80:81]
	v_add_f64 v[76:77], v[144:145], v[78:79]
	v_fma_f64 v[92:93], s[8:9], v[118:119], v[2:3]
	v_fmac_f64_e32 v[2:3], s[6:7], v[118:119]
	v_add_f64 v[120:121], v[66:67], -v[48:49]
	v_fmac_f64_e32 v[108:109], s[2:3], v[116:117]
	v_add_f64 v[78:79], v[72:73], -v[78:79]
	v_add_f64 v[72:73], v[76:77], v[86:87]
	v_add_f64 v[76:77], v[90:91], -v[86:87]
	v_fmac_f64_e32 v[2:3], s[2:3], v[120:121]
	v_fmac_f64_e32 v[108:109], s[10:11], v[94:95]
	v_add_f64 v[78:79], v[78:79], v[76:77]
	v_add_f64 v[70:71], v[70:71], -v[42:43]
	v_add_f64 v[76:77], v[16:17], -v[24:25]
	v_fmac_f64_e32 v[2:3], s[10:11], v[104:105]
	v_fmac_f64_e32 v[56:57], s[12:13], v[108:109]
	v_add_f64 v[86:87], v[70:71], v[76:77]
	v_fma_f64 v[70:71], s[6:7], v[120:121], v[8:9]
	v_fmac_f64_e32 v[8:9], s[8:9], v[120:121]
	v_add_f64 v[6:7], v[2:3], v[56:57]
	v_add_f64 v[2:3], v[2:3], -v[56:57]
	v_add_f64 v[56:57], v[46:47], v[44:45]
	v_add_f64 v[128:129], v[54:55], v[66:67]
	v_fmac_f64_e32 v[70:71], s[0:1], v[118:119]
	v_fmac_f64_e32 v[8:9], s[2:3], v[118:119]
	v_fma_f64 v[100:101], -0.5, v[56:57], v[54:55]
	v_add_f64 v[56:57], v[66:67], v[48:49]
	v_add_f64 v[72:73], v[72:73], v[90:91]
	v_fmac_f64_e32 v[70:71], s[10:11], v[80:81]
	v_fma_f64 v[90:91], s[8:9], v[112:113], v[64:65]
	v_fmac_f64_e32 v[8:9], s[10:11], v[80:81]
	v_add_f64 v[80:81], v[128:129], v[46:47]
	v_fmac_f64_e32 v[54:55], -0.5, v[56:57]
	v_add_f64 v[56:57], v[46:47], -v[66:67]
	v_add_f64 v[122:123], v[44:45], -v[48:49]
	v_add_f64 v[68:69], v[68:69], v[88:89]
	v_fma_f64 v[88:89], s[6:7], v[116:117], v[62:63]
	v_fmac_f64_e32 v[90:91], s[2:3], v[110:111]
	v_add_f64 v[46:47], v[66:67], -v[46:47]
	v_add_f64 v[66:67], v[80:81], v[44:45]
	v_add_f64 v[44:45], v[48:49], -v[44:45]
	v_add_f64 v[42:43], v[98:99], v[42:43]
	v_fmac_f64_e32 v[64:65], s[6:7], v[112:113]
	v_fmac_f64_e32 v[146:147], s[8:9], v[108:109]
	v_fma_f64 v[108:109], s[6:7], v[126:127], v[54:55]
	v_fmac_f64_e32 v[54:55], s[8:9], v[126:127]
	v_fmac_f64_e32 v[88:89], s[0:1], v[114:115]
	;; [unrolled: 1-line block ×3, first 2 shown]
	v_lshrrev_b32_e32 v142, 6, v0
	v_add_f64 v[44:45], v[46:47], v[44:45]
	v_fma_f64 v[46:47], s[8:9], v[124:125], v[100:101]
	v_fmac_f64_e32 v[62:63], s[8:9], v[116:117]
	v_add_f64 v[24:25], v[42:43], v[24:25]
	v_fmac_f64_e32 v[64:65], s[0:1], v[110:111]
	v_add_f64 v[122:123], v[56:57], v[122:123]
	v_fmac_f64_e32 v[54:55], s[0:1], v[124:125]
	v_fmac_f64_e32 v[88:89], s[10:11], v[78:79]
	v_mul_f64 v[76:77], v[90:91], s[0:1]
	v_mul_u32_u24_e32 v142, 0x280, v142
	v_fmac_f64_e32 v[46:47], s[2:3], v[126:127]
	v_fmac_f64_e32 v[62:63], s[2:3], v[114:115]
	v_add_f64 v[16:17], v[24:25], v[16:17]
	v_fmac_f64_e32 v[64:65], s[10:11], v[86:87]
	v_mul_f64 v[24:25], v[90:91], s[14:15]
	v_fmac_f64_e32 v[54:55], s[10:11], v[122:123]
	v_fmac_f64_e32 v[76:77], s[14:15], v[88:89]
	v_or_b32_e32 v142, v142, v141
	v_add_f64 v[66:67], v[66:67], v[48:49]
	v_fmac_f64_e32 v[46:47], s[10:11], v[44:45]
	v_fmac_f64_e32 v[62:63], s[10:11], v[78:79]
	;; [unrolled: 1-line block ×3, first 2 shown]
	v_mul_f64 v[48:49], v[64:65], s[0:1]
	v_mul_f64 v[64:65], v[64:65], s[16:17]
	v_add_f64 v[56:57], v[54:55], v[146:147]
	v_add_f64 v[54:55], v[54:55], -v[146:147]
	v_lshl_add_u32 v146, v142, 3, 0
	v_add_f64 v[142:143], v[68:69], v[72:73]
	v_add_f64 v[144:145], v[70:71], v[76:77]
	v_fmac_f64_e32 v[100:101], s[6:7], v[124:125]
	v_fmac_f64_e32 v[106:107], s[2:3], v[112:113]
	;; [unrolled: 1-line block ×4, first 2 shown]
	v_add_f64 v[62:63], v[68:69], -v[72:73]
	v_add_f64 v[68:69], v[70:71], -v[76:77]
	v_add_f64 v[76:77], v[66:67], v[16:17]
	v_add_f64 v[66:67], v[66:67], -v[16:17]
	v_add_f64 v[78:79], v[46:47], v[24:25]
	v_add_f64 v[80:81], v[46:47], -v[24:25]
	v_add_f64 v[16:17], v[60:61], -v[40:41]
	;; [unrolled: 1-line block ×3, first 2 shown]
	v_fmac_f64_e32 v[100:101], s[0:1], v[126:127]
	v_fmac_f64_e32 v[102:103], s[0:1], v[116:117]
	;; [unrolled: 1-line block ×3, first 2 shown]
	v_add_f64 v[16:17], v[16:17], v[24:25]
	v_add_f64 v[24:25], v[40:41], v[32:33]
	v_fmac_f64_e32 v[92:93], s[0:1], v[120:121]
	v_fmac_f64_e32 v[100:101], s[10:11], v[44:45]
	;; [unrolled: 1-line block ×3, first 2 shown]
	v_mul_f64 v[42:43], v[106:107], s[6:7]
	v_fma_f64 v[24:25], -0.5, v[24:25], v[58:59]
	v_add_f64 v[46:47], v[50:51], -v[14:15]
	v_fmac_f64_e32 v[92:93], s[10:11], v[104:105]
	v_fmac_f64_e32 v[42:43], s[10:11], v[102:103]
	v_add_f64 v[72:73], v[8:9], v[48:49]
	v_add_f64 v[8:9], v[8:9], -v[48:49]
	v_add_f64 v[88:89], v[100:101], v[64:65]
	v_add_f64 v[90:91], v[100:101], -v[64:65]
	v_fma_f64 v[48:49], s[6:7], v[46:47], v[24:25]
	v_add_f64 v[64:65], v[36:37], -v[30:31]
	v_fmac_f64_e32 v[24:25], s[8:9], v[46:47]
	v_add_f64 v[70:71], v[92:93], v[42:43]
	v_add_f64 v[42:43], v[92:93], -v[42:43]
	v_fmac_f64_e32 v[48:49], s[0:1], v[64:65]
	v_fmac_f64_e32 v[24:25], s[2:3], v[64:65]
	v_add_f64 v[92:93], v[60:61], v[20:21]
	v_fmac_f64_e32 v[48:49], s[10:11], v[16:17]
	v_fmac_f64_e32 v[24:25], s[10:11], v[16:17]
	v_add_f64 v[16:17], v[58:59], v[60:61]
	v_fmac_f64_e32 v[58:59], -0.5, v[92:93]
	v_add_f64 v[92:93], v[40:41], -v[60:61]
	v_add_f64 v[94:95], v[32:33], -v[20:21]
	v_add_f64 v[92:93], v[92:93], v[94:95]
	v_fma_f64 v[94:95], s[8:9], v[64:65], v[58:59]
	v_fmac_f64_e32 v[58:59], s[6:7], v[64:65]
	v_add_f64 v[16:17], v[16:17], v[40:41]
	v_fmac_f64_e32 v[94:95], s[0:1], v[46:47]
	v_fmac_f64_e32 v[58:59], s[2:3], v[46:47]
	v_add_f64 v[16:17], v[16:17], v[32:33]
	v_add_f64 v[32:33], v[40:41], -v[32:33]
	v_add_f64 v[40:41], v[50:51], -v[36:37]
	;; [unrolled: 1-line block ×3, first 2 shown]
	v_add_f64 v[40:41], v[40:41], v[46:47]
	v_add_f64 v[46:47], v[36:37], v[30:31]
	;; [unrolled: 1-line block ×3, first 2 shown]
	v_add_f64 v[20:21], v[60:61], -v[20:21]
	v_fma_f64 v[46:47], -0.5, v[46:47], v[52:53]
	v_fma_f64 v[60:61], s[8:9], v[20:21], v[46:47]
	v_fmac_f64_e32 v[46:47], s[6:7], v[20:21]
	v_fmac_f64_e32 v[60:61], s[2:3], v[32:33]
	;; [unrolled: 1-line block ×5, first 2 shown]
	v_add_f64 v[40:41], v[52:53], v[50:51]
	v_add_f64 v[64:65], v[50:51], v[14:15]
	;; [unrolled: 1-line block ×3, first 2 shown]
	v_fmac_f64_e32 v[52:53], -0.5, v[64:65]
	v_add_f64 v[40:41], v[40:41], v[30:31]
	v_add_f64 v[36:37], v[36:37], -v[50:51]
	v_add_f64 v[40:41], v[40:41], v[14:15]
	v_add_f64 v[14:15], v[30:31], -v[14:15]
	v_fma_f64 v[30:31], s[6:7], v[32:33], v[52:53]
	v_fmac_f64_e32 v[52:53], s[8:9], v[32:33]
	v_add_f64 v[14:15], v[36:37], v[14:15]
	v_fmac_f64_e32 v[30:31], s[2:3], v[20:21]
	v_fmac_f64_e32 v[52:53], s[0:1], v[20:21]
	;; [unrolled: 1-line block ×4, first 2 shown]
	v_add_f64 v[14:15], v[38:39], -v[28:29]
	v_add_f64 v[20:21], v[74:75], -v[22:23]
	v_add_f64 v[14:15], v[14:15], v[20:21]
	v_add_f64 v[20:21], v[28:29], v[22:23]
	v_fma_f64 v[20:21], -0.5, v[20:21], v[10:11]
	v_add_f64 v[32:33], v[34:35], -v[12:13]
	v_fma_f64 v[36:37], s[6:7], v[32:33], v[20:21]
	v_add_f64 v[50:51], v[26:27], -v[18:19]
	v_fmac_f64_e32 v[20:21], s[8:9], v[32:33]
	v_fmac_f64_e32 v[36:37], s[0:1], v[50:51]
	;; [unrolled: 1-line block ×3, first 2 shown]
	v_add_f64 v[64:65], v[38:39], v[74:75]
	v_fmac_f64_e32 v[94:95], s[10:11], v[92:93]
	v_fmac_f64_e32 v[58:59], s[10:11], v[92:93]
	;; [unrolled: 1-line block ×4, first 2 shown]
	v_add_f64 v[14:15], v[10:11], v[38:39]
	v_fmac_f64_e32 v[10:11], -0.5, v[64:65]
	v_add_f64 v[64:65], v[28:29], -v[38:39]
	v_add_f64 v[92:93], v[22:23], -v[74:75]
	v_add_f64 v[64:65], v[64:65], v[92:93]
	v_fma_f64 v[92:93], s[8:9], v[50:51], v[10:11]
	v_fmac_f64_e32 v[10:11], s[6:7], v[50:51]
	v_add_f64 v[14:15], v[14:15], v[28:29]
	v_fmac_f64_e32 v[92:93], s[0:1], v[32:33]
	v_fmac_f64_e32 v[10:11], s[2:3], v[32:33]
	v_add_f64 v[14:15], v[14:15], v[22:23]
	v_add_f64 v[32:33], v[38:39], -v[74:75]
	v_add_f64 v[22:23], v[28:29], -v[22:23]
	;; [unrolled: 1-line block ×4, first 2 shown]
	v_add_f64 v[28:29], v[28:29], v[38:39]
	v_add_f64 v[38:39], v[26:27], v[18:19]
	v_fma_f64 v[38:39], -0.5, v[38:39], v[4:5]
	v_fma_f64 v[50:51], s[8:9], v[32:33], v[38:39]
	v_fmac_f64_e32 v[38:39], s[6:7], v[32:33]
	v_fmac_f64_e32 v[50:51], s[2:3], v[22:23]
	;; [unrolled: 1-line block ×5, first 2 shown]
	v_add_f64 v[28:29], v[4:5], v[34:35]
	v_fmac_f64_e32 v[92:93], s[10:11], v[64:65]
	v_fmac_f64_e32 v[10:11], s[10:11], v[64:65]
	v_add_f64 v[64:65], v[34:35], v[12:13]
	v_add_f64 v[28:29], v[28:29], v[26:27]
	v_fmac_f64_e32 v[4:5], -0.5, v[64:65]
	v_add_f64 v[28:29], v[28:29], v[18:19]
	v_add_f64 v[26:27], v[26:27], -v[34:35]
	v_add_f64 v[28:29], v[28:29], v[12:13]
	v_add_f64 v[12:13], v[18:19], -v[12:13]
	v_fma_f64 v[18:19], s[6:7], v[22:23], v[4:5]
	v_fmac_f64_e32 v[4:5], s[8:9], v[22:23]
	v_add_f64 v[12:13], v[26:27], v[12:13]
	v_fmac_f64_e32 v[4:5], s[0:1], v[32:33]
	v_fmac_f64_e32 v[4:5], s[10:11], v[12:13]
	;; [unrolled: 1-line block ×3, first 2 shown]
	v_mul_f64 v[32:33], v[4:5], s[6:7]
	v_mul_f64 v[4:5], v[4:5], s[12:13]
	s_barrier
	ds_write2st64_b64 v146, v[142:143], v[144:145] offset1:1
	v_fmac_f64_e32 v[18:19], s[10:11], v[12:13]
	v_mul_f64 v[12:13], v[50:51], s[0:1]
	v_fmac_f64_e32 v[32:33], s[12:13], v[10:11]
	v_fmac_f64_e32 v[4:5], s[8:9], v[10:11]
	v_mul_f64 v[10:11], v[38:39], s[0:1]
	s_movk_i32 s0, 0x280
	ds_write2st64_b64 v146, v[70:71], v[6:7] offset0:2 offset1:3
	ds_write2st64_b64 v146, v[72:73], v[62:63] offset0:4 offset1:5
	;; [unrolled: 1-line block ×4, first 2 shown]
	v_lshrrev_b32_e32 v2, 6, v85
	v_mul_lo_u32 v2, v2, s0
	v_add_f64 v[14:15], v[14:15], v[74:75]
	v_fmac_f64_e32 v[12:13], s[14:15], v[36:37]
	v_mul_f64 v[22:23], v[50:51], s[14:15]
	v_mul_f64 v[26:27], v[18:19], s[6:7]
	;; [unrolled: 1-line block ×3, first 2 shown]
	v_fmac_f64_e32 v[10:11], s[16:17], v[20:21]
	v_mul_f64 v[34:35], v[38:39], s[16:17]
	v_or_b32_e32 v2, v2, v141
	v_fmac_f64_e32 v[22:23], s[2:3], v[36:37]
	v_fmac_f64_e32 v[26:27], s[10:11], v[92:93]
	;; [unrolled: 1-line block ×4, first 2 shown]
	v_add_f64 v[20:21], v[16:17], v[14:15]
	v_add_f64 v[14:15], v[16:17], -v[14:15]
	v_add_f64 v[16:17], v[48:49], v[12:13]
	v_add_f64 v[12:13], v[48:49], -v[12:13]
	;; [unrolled: 2-line block ×3, first 2 shown]
	v_lshl_add_u32 v68, v2, 3, 0
	v_add_f64 v[36:37], v[94:95], v[26:27]
	v_add_f64 v[26:27], v[94:95], -v[26:27]
	v_add_f64 v[38:39], v[58:59], v[32:33]
	v_add_f64 v[32:33], v[58:59], -v[32:33]
	;; [unrolled: 2-line block ×7, first 2 shown]
	ds_write2st64_b64 v68, v[20:21], v[16:17] offset1:1
	ds_write2st64_b64 v68, v[36:37], v[38:39] offset0:2 offset1:3
	ds_write2st64_b64 v68, v[48:49], v[14:15] offset0:4 offset1:5
	;; [unrolled: 1-line block ×4, first 2 shown]
	s_waitcnt lgkmcnt(0)
	s_barrier
	ds_read2st64_b64 v[2:5], v133 offset1:10
	ds_read2st64_b64 v[10:13], v133 offset0:20 offset1:22
	ds_read2st64_b64 v[6:9], v133 offset0:28 offset1:30
	;; [unrolled: 1-line block ×7, first 2 shown]
	ds_read_b64 v[60:61], v137
	ds_read_b64 v[62:63], v138
	;; [unrolled: 1-line block ×4, first 2 shown]
	v_fmac_f64_e32 v[108:109], s[2:3], v[124:125]
	v_mul_f64 v[44:45], v[106:107], s[10:11]
	v_fmac_f64_e32 v[108:109], s[10:11], v[122:123]
	v_fmac_f64_e32 v[44:45], s[8:9], v[102:103]
	v_add_f64 v[86:87], v[108:109], v[44:45]
	v_add_f64 v[44:45], v[108:109], -v[44:45]
	s_waitcnt lgkmcnt(0)
	s_barrier
	ds_write2st64_b64 v146, v[76:77], v[78:79] offset1:1
	ds_write2st64_b64 v146, v[86:87], v[56:57] offset0:2 offset1:3
	ds_write2st64_b64 v146, v[88:89], v[66:67] offset0:4 offset1:5
	;; [unrolled: 1-line block ×4, first 2 shown]
	ds_write2st64_b64 v68, v[58:59], v[40:41] offset1:1
	ds_write2st64_b64 v68, v[92:93], v[94:95] offset0:2 offset1:3
	ds_write2st64_b64 v68, v[98:99], v[28:29] offset0:4 offset1:5
	;; [unrolled: 1-line block ×4, first 2 shown]
	s_waitcnt lgkmcnt(0)
	s_barrier
	s_and_saveexec_b64 s[0:1], vcc
	s_cbranch_execz .LBB0_15
; %bb.14:
	v_mul_i32_i24_e32 v58, 3, v131
	v_mov_b32_e32 v59, 0
	v_lshl_add_u64 v[26:27], v[58:59], 4, s[4:5]
	s_mov_b64 s[0:1], 0x27c0
	v_lshl_add_u64 v[28:29], v[26:27], 0, s[0:1]
	v_add_co_u32_e32 v26, vcc, 0x2000, v26
	global_load_dwordx4 v[30:33], v[28:29], off offset:32
	global_load_dwordx4 v[38:41], v[28:29], off offset:16
	v_addc_co_u32_e32 v27, vcc, 0, v27, vcc
	global_load_dwordx4 v[34:37], v[26:27], off offset:1984
	v_mul_i32_i24_e32 v58, 3, v130
	s_movk_i32 s2, 0x2000
	v_lshl_add_u64 v[26:27], v[58:59], 4, s[4:5]
	v_lshl_add_u64 v[28:29], v[26:27], 0, s[0:1]
	v_add_co_u32_e32 v26, vcc, s2, v26
	v_mul_i32_i24_e32 v44, 0xffffffe8, v130
	s_nop 0
	v_addc_co_u32_e32 v27, vcc, 0, v27, vcc
	global_load_dwordx4 v[68:71], v[28:29], off offset:16
	global_load_dwordx4 v[72:75], v[26:27], off offset:1984
	;; [unrolled: 1-line block ×3, first 2 shown]
	v_mul_i32_i24_e32 v45, 0xffffffe8, v131
	v_add_u32_e32 v45, v136, v45
	v_add_u32_e32 v58, v135, v44
	ds_read2st64_b64 v[26:29], v133 offset0:28 offset1:30
	ds_read2st64_b64 v[86:89], v133 offset0:16 offset1:18
	;; [unrolled: 1-line block ×4, first 2 shown]
	ds_read_b64 v[44:45], v45
	ds_read_b64 v[66:67], v58
	v_mul_i32_i24_e32 v58, 3, v1
	v_lshl_add_u64 v[80:81], v[58:59], 4, s[4:5]
	v_lshl_add_u64 v[106:107], v[80:81], 0, s[0:1]
	v_add_co_u32_e32 v80, vcc, s2, v80
	v_mul_i32_i24_e32 v58, 3, v85
	s_nop 0
	v_addc_co_u32_e32 v81, vcc, 0, v81, vcc
	global_load_dwordx4 v[94:97], v[106:107], off offset:32
	global_load_dwordx4 v[98:101], v[106:107], off offset:16
	;; [unrolled: 1-line block ×3, first 2 shown]
	v_lshl_add_u64 v[108:109], v[58:59], 4, s[4:5]
	v_lshl_add_u64 v[80:81], v[108:109], 0, s[0:1]
	v_add_co_u32_e32 v114, vcc, s2, v108
	v_mul_i32_i24_e32 v118, 0xffffffe8, v1
	s_nop 0
	v_addc_co_u32_e32 v115, vcc, 0, v109, vcc
	global_load_dwordx4 v[106:109], v[80:81], off offset:32
	global_load_dwordx4 v[110:113], v[80:81], off offset:16
	v_mul_u32_u24_e32 v1, 3, v0
	v_lshlrev_b32_e32 v58, 4, v1
	v_add_u32_e32 v1, v134, v118
	v_mul_i32_i24_e32 v126, 0xffffffe8, v85
	v_mov_b32_e32 v85, v59
	s_waitcnt vmcnt(10) lgkmcnt(3)
	v_mul_f64 v[116:117], v[32:33], v[92:93]
	s_waitcnt vmcnt(9)
	v_mul_f64 v[80:81], v[6:7], v[40:41]
	v_mul_f64 v[40:41], v[26:27], v[40:41]
	v_fma_f64 v[26:27], v[38:39], v[26:27], -v[80:81]
	s_waitcnt vmcnt(8)
	v_mul_f64 v[80:81], v[36:37], v[88:89]
	v_fmac_f64_e32 v[116:117], v[48:49], v[30:31]
	v_fmac_f64_e32 v[40:41], v[6:7], v[38:39]
	v_mul_f64 v[6:7], v[52:53], v[36:37]
	v_fmac_f64_e32 v[80:81], v[52:53], v[34:35]
	v_fma_f64 v[6:7], v[34:35], v[88:89], -v[6:7]
	v_add_f64 v[34:35], v[80:81], -v[116:117]
	global_load_dwordx4 v[114:117], v[114:115], off offset:1984
	v_mul_f64 v[32:33], v[48:49], v[32:33]
	v_fma_f64 v[30:31], v[30:31], v[92:93], -v[32:33]
	s_waitcnt vmcnt(8)
	v_mul_f64 v[32:33], v[24:25], v[70:71]
	s_waitcnt lgkmcnt(1)
	v_add_f64 v[26:27], v[44:45], -v[26:27]
	v_add_f64 v[36:37], v[42:43], -v[40:41]
	;; [unrolled: 1-line block ×3, first 2 shown]
	v_fma_f64 v[32:33], v[68:69], v[56:57], -v[32:33]
	v_fma_f64 v[44:45], v[44:45], 2.0, -v[26:27]
	v_add_f64 v[30:31], v[36:37], v[38:39]
	v_fma_f64 v[6:7], v[6:7], 2.0, -v[38:39]
	v_mul_f64 v[56:57], v[56:57], v[70:71]
	s_waitcnt vmcnt(7)
	v_mul_f64 v[92:93], v[74:75], v[86:87]
	v_fma_f64 v[42:43], v[42:43], 2.0, -v[36:37]
	v_fma_f64 v[38:39], v[36:37], 2.0, -v[30:31]
	v_add_f64 v[36:37], v[44:45], -v[6:7]
	s_waitcnt vmcnt(6)
	v_mul_f64 v[6:7], v[78:79], v[90:91]
	v_fmac_f64_e32 v[56:57], v[24:25], v[68:69]
	v_mul_f64 v[24:25], v[50:51], v[74:75]
	v_fmac_f64_e32 v[92:93], v[50:51], v[72:73]
	v_fmac_f64_e32 v[6:7], v[46:47], v[76:77]
	v_fma_f64 v[50:51], v[72:73], v[86:87], -v[24:25]
	v_mul_f64 v[24:25], v[46:47], v[78:79]
	v_lshl_add_u64 v[46:47], s[4:5], 0, v[58:59]
	v_fma_f64 v[24:25], v[76:77], v[90:91], -v[24:25]
	v_lshl_add_u64 v[76:77], v[46:47], 0, s[0:1]
	v_add_co_u32_e32 v46, vcc, s2, v46
	global_load_dwordx4 v[68:71], v[76:77], off offset:16
	s_nop 0
	v_addc_co_u32_e32 v47, vcc, 0, v47, vcc
	global_load_dwordx4 v[72:75], v[46:47], off offset:1984
	s_waitcnt lgkmcnt(0)
	v_add_f64 v[52:53], v[66:67], -v[32:33]
	global_load_dwordx4 v[76:79], v[76:77], off offset:32
	v_add_f64 v[32:33], v[26:27], -v[34:35]
	v_fma_f64 v[34:35], v[80:81], 2.0, -v[34:35]
	v_add_f64 v[56:57], v[64:65], -v[56:57]
	v_add_f64 v[80:81], v[50:51], -v[24:25]
	;; [unrolled: 1-line block ×3, first 2 shown]
	v_add_f64 v[24:25], v[56:57], v[80:81]
	v_fma_f64 v[40:41], v[26:27], 2.0, -v[32:33]
	v_add_f64 v[26:27], v[52:53], -v[6:7]
	v_fma_f64 v[46:47], v[56:57], 2.0, -v[24:25]
	v_fma_f64 v[66:67], v[66:67], 2.0, -v[52:53]
	v_fma_f64 v[50:51], v[50:51], 2.0, -v[80:81]
	v_fma_f64 v[56:57], v[64:65], 2.0, -v[56:57]
	v_fma_f64 v[6:7], v[92:93], 2.0, -v[6:7]
	v_fma_f64 v[48:49], v[52:53], 2.0, -v[26:27]
	v_add_f64 v[52:53], v[66:67], -v[50:51]
	v_add_f64 v[50:51], v[56:57], -v[6:7]
	ds_read_b64 v[6:7], v1
	ds_read2st64_b64 v[86:89], v133 offset0:12 offset1:14
	ds_read2st64_b64 v[90:93], v133 offset0:32 offset1:34
	v_fma_f64 v[64:65], v[56:57], 2.0, -v[50:51]
	s_waitcnt vmcnt(7)
	v_mul_f64 v[56:57], v[22:23], v[100:101]
	v_fma_f64 v[56:57], v[98:99], v[54:55], -v[56:57]
	s_waitcnt lgkmcnt(2)
	v_add_f64 v[80:81], v[6:7], -v[56:57]
	s_waitcnt vmcnt(6) lgkmcnt(1)
	v_mul_f64 v[122:123], v[104:105], v[88:89]
	s_waitcnt lgkmcnt(0)
	v_mul_f64 v[56:57], v[96:97], v[92:93]
	v_fmac_f64_e32 v[122:123], v[20:21], v[102:103]
	v_fmac_f64_e32 v[56:57], v[16:17], v[94:95]
	v_mul_f64 v[54:55], v[54:55], v[100:101]
	v_mul_f64 v[20:21], v[20:21], v[104:105]
	;; [unrolled: 1-line block ×3, first 2 shown]
	v_fmac_f64_e32 v[54:55], v[22:23], v[98:99]
	v_fma_f64 v[20:21], v[102:103], v[88:89], -v[20:21]
	v_fma_f64 v[16:17], v[94:95], v[92:93], -v[16:17]
	v_add_f64 v[98:99], v[62:63], -v[54:55]
	v_add_f64 v[16:17], v[20:21], -v[16:17]
	v_add_f64 v[54:55], v[98:99], v[16:17]
	v_fma_f64 v[6:7], v[6:7], 2.0, -v[80:81]
	v_fma_f64 v[16:17], v[20:21], 2.0, -v[16:17]
	v_add_f64 v[22:23], v[6:7], -v[16:17]
	v_add_f64 v[124:125], v[122:123], -v[56:57]
	v_fma_f64 v[118:119], v[98:99], 2.0, -v[54:55]
	v_fma_f64 v[94:95], v[6:7], 2.0, -v[22:23]
	;; [unrolled: 1-line block ×3, first 2 shown]
	v_add_u32_e32 v1, v132, v126
	ds_read2st64_b64 v[96:99], v133 offset0:20 offset1:22
	ds_read_b64 v[62:63], v1
	v_fma_f64 v[16:17], v[122:123], 2.0, -v[124:125]
	v_add_f64 v[56:57], v[80:81], -v[124:125]
	v_add_f64 v[20:21], v[6:7], -v[16:17]
	v_fma_f64 v[120:121], v[80:81], 2.0, -v[56:57]
	v_fma_f64 v[92:93], v[6:7], 2.0, -v[20:21]
	s_waitcnt vmcnt(4)
	v_mul_f64 v[6:7], v[12:13], v[112:113]
	s_waitcnt vmcnt(3)
	v_mul_f64 v[80:81], v[116:117], v[86:87]
	v_mul_f64 v[16:17], v[108:109], v[90:91]
	s_waitcnt lgkmcnt(1)
	v_fma_f64 v[6:7], v[110:111], v[98:99], -v[6:7]
	v_fmac_f64_e32 v[80:81], v[18:19], v[114:115]
	v_fmac_f64_e32 v[16:17], v[14:15], v[106:107]
	v_mul_f64 v[18:19], v[18:19], v[116:117]
	v_mul_f64 v[14:15], v[14:15], v[108:109]
	s_waitcnt lgkmcnt(0)
	v_add_f64 v[6:7], v[62:63], -v[6:7]
	v_add_f64 v[102:103], v[80:81], -v[16:17]
	v_mul_f64 v[98:99], v[98:99], v[112:113]
	v_fma_f64 v[18:19], v[114:115], v[86:87], -v[18:19]
	v_fma_f64 v[14:15], v[106:107], v[90:91], -v[14:15]
	v_add_f64 v[16:17], v[6:7], -v[102:103]
	v_fmac_f64_e32 v[98:99], v[12:13], v[110:111]
	v_add_f64 v[90:91], v[18:19], -v[14:15]
	v_fma_f64 v[88:89], v[6:7], 2.0, -v[16:17]
	v_add_f64 v[12:13], v[60:61], -v[98:99]
	v_fma_f64 v[6:7], v[62:63], 2.0, -v[6:7]
	v_fma_f64 v[18:19], v[18:19], 2.0, -v[90:91]
	v_add_f64 v[14:15], v[12:13], v[90:91]
	v_add_f64 v[62:63], v[6:7], -v[18:19]
	v_fma_f64 v[86:87], v[12:13], 2.0, -v[14:15]
	v_fma_f64 v[100:101], v[6:7], 2.0, -v[62:63]
	;; [unrolled: 1-line block ×4, first 2 shown]
	ds_read2st64_b64 v[102:105], v133 offset1:10
	v_add_f64 v[60:61], v[6:7], -v[12:13]
	v_fma_f64 v[98:99], v[6:7], 2.0, -v[60:61]
	s_waitcnt vmcnt(2)
	v_mul_f64 v[6:7], v[10:11], v[70:71]
	v_fma_f64 v[6:7], v[68:69], v[96:97], -v[6:7]
	s_waitcnt vmcnt(1) lgkmcnt(0)
	v_mul_f64 v[80:81], v[74:75], v[104:105]
	v_mul_f64 v[70:71], v[96:97], v[70:71]
	v_add_f64 v[18:19], v[102:103], -v[6:7]
	v_fmac_f64_e32 v[80:81], v[4:5], v[72:73]
	s_waitcnt vmcnt(0)
	v_mul_f64 v[6:7], v[78:79], v[28:29]
	v_fmac_f64_e32 v[70:71], v[10:11], v[68:69]
	v_mul_f64 v[4:5], v[4:5], v[74:75]
	v_fmac_f64_e32 v[6:7], v[8:9], v[76:77]
	v_add_f64 v[68:69], v[2:3], -v[70:71]
	v_fma_f64 v[70:71], v[72:73], v[104:105], -v[4:5]
	v_mul_f64 v[4:5], v[8:9], v[78:79]
	v_add_f64 v[90:91], v[80:81], -v[6:7]
	v_fma_f64 v[4:5], v[76:77], v[28:29], -v[4:5]
	v_add_f64 v[6:7], v[18:19], -v[90:91]
	v_add_f64 v[8:9], v[70:71], -v[4:5]
	v_fma_f64 v[12:13], v[18:19], 2.0, -v[6:7]
	v_add_f64 v[4:5], v[68:69], v[8:9]
	v_fma_f64 v[18:19], v[102:103], 2.0, -v[18:19]
	v_fma_f64 v[8:9], v[70:71], 2.0, -v[8:9]
	v_add_f64 v[70:71], v[18:19], -v[8:9]
	v_fma_f64 v[2:3], v[2:3], 2.0, -v[68:69]
	v_fma_f64 v[8:9], v[80:81], 2.0, -v[90:91]
	;; [unrolled: 1-line block ×3, first 2 shown]
	v_add_f64 v[68:69], v[2:3], -v[8:9]
	v_fma_f64 v[72:73], v[2:3], 2.0, -v[68:69]
	v_lshl_add_u64 v[2:3], v[82:83], 0, v[84:85]
	v_add_co_u32_e32 v8, vcc, s2, v2
	s_movk_i32 s0, 0x5000
	s_nop 0
	v_addc_co_u32_e32 v9, vcc, 0, v3, vcc
	global_store_dwordx4 v[8:9], v[10:13], off offset:2048
	v_add_co_u32_e32 v8, vcc, s0, v2
	s_movk_i32 s0, 0x7000
	s_nop 0
	v_addc_co_u32_e32 v9, vcc, 0, v3, vcc
	global_store_dwordx4 v[8:9], v[68:71], off
	v_add_co_u32_e32 v8, vcc, s0, v2
	v_fma_f64 v[74:75], v[18:19], 2.0, -v[70:71]
	s_nop 0
	v_addc_co_u32_e32 v9, vcc, 0, v3, vcc
	v_or_b32_e32 v58, 0x3000, v84
	global_store_dwordx4 v[2:3], v[72:75], off
	global_store_dwordx4 v[8:9], v[4:7], off offset:2048
	global_store_dwordx4 v[2:3], v[98:101], off offset:2048
	v_lshl_add_u64 v[2:3], v[82:83], 0, v[58:59]
	v_or_b32_e32 v58, 0x5800, v84
	global_store_dwordx4 v[2:3], v[86:89], off
	v_lshl_add_u64 v[2:3], v[82:83], 0, v[58:59]
	v_or_b32_e32 v58, 0x8000, v84
	global_store_dwordx4 v[2:3], v[60:63], off
	v_lshl_add_u64 v[2:3], v[82:83], 0, v[58:59]
	v_or_b32_e32 v58, 0x1000, v84
	v_mov_b32_e32 v1, 0x3800
	global_store_dwordx4 v[2:3], v[14:17], off
	v_lshl_add_u64 v[2:3], v[82:83], 0, v[58:59]
	v_lshl_or_b32 v58, v0, 4, v1
	v_lshl_add_u64 v[0:1], v[82:83], 0, v[58:59]
	v_or_b32_e32 v58, 0x6000, v84
	global_store_dwordx4 v[0:1], v[118:121], off
	v_lshl_add_u64 v[0:1], v[82:83], 0, v[58:59]
	v_or_b32_e32 v58, 0x8800, v84
	global_store_dwordx4 v[0:1], v[20:23], off
	v_lshl_add_u64 v[0:1], v[82:83], 0, v[58:59]
	v_or_b32_e32 v58, 0x1800, v84
	v_fma_f64 v[66:67], v[66:67], 2.0, -v[52:53]
	global_store_dwordx4 v[0:1], v[54:57], off
	v_lshl_add_u64 v[0:1], v[82:83], 0, v[58:59]
	v_or_b32_e32 v58, 0x4000, v84
	global_store_dwordx4 v[0:1], v[64:67], off
	v_lshl_add_u64 v[0:1], v[82:83], 0, v[58:59]
	v_or_b32_e32 v58, 0x6800, v84
	;; [unrolled: 3-line block ×3, first 2 shown]
	v_add_f64 v[34:35], v[42:43], -v[34:35]
	global_store_dwordx4 v[0:1], v[50:53], off
	v_lshl_add_u64 v[0:1], v[82:83], 0, v[58:59]
	v_or_b32_e32 v58, 0x2000, v84
	v_fma_f64 v[44:45], v[44:45], 2.0, -v[36:37]
	v_fma_f64 v[42:43], v[42:43], 2.0, -v[34:35]
	global_store_dwordx4 v[0:1], v[24:27], off
	v_lshl_add_u64 v[0:1], v[82:83], 0, v[58:59]
	v_or_b32_e32 v58, 0x4800, v84
	global_store_dwordx4 v[0:1], v[42:45], off
	v_lshl_add_u64 v[0:1], v[82:83], 0, v[58:59]
	v_or_b32_e32 v58, 0x7000, v84
	;; [unrolled: 3-line block ×3, first 2 shown]
	global_store_dwordx4 v[0:1], v[34:37], off
	v_lshl_add_u64 v[0:1], v[82:83], 0, v[58:59]
	global_store_dwordx4 v[2:3], v[92:95], off
	global_store_dwordx4 v[0:1], v[30:33], off
.LBB0_15:
	s_endpgm
	.section	.rodata,"a",@progbits
	.p2align	6, 0x0
	.amdhsa_kernel fft_rtc_back_len2560_factors_4_4_4_10_4_wgs_128_tpt_128_halfLds_dp_ip_CI_unitstride_sbrr_dirReg
		.amdhsa_group_segment_fixed_size 0
		.amdhsa_private_segment_fixed_size 0
		.amdhsa_kernarg_size 88
		.amdhsa_user_sgpr_count 2
		.amdhsa_user_sgpr_dispatch_ptr 0
		.amdhsa_user_sgpr_queue_ptr 0
		.amdhsa_user_sgpr_kernarg_segment_ptr 1
		.amdhsa_user_sgpr_dispatch_id 0
		.amdhsa_user_sgpr_kernarg_preload_length 0
		.amdhsa_user_sgpr_kernarg_preload_offset 0
		.amdhsa_user_sgpr_private_segment_size 0
		.amdhsa_uses_dynamic_stack 0
		.amdhsa_enable_private_segment 0
		.amdhsa_system_sgpr_workgroup_id_x 1
		.amdhsa_system_sgpr_workgroup_id_y 0
		.amdhsa_system_sgpr_workgroup_id_z 0
		.amdhsa_system_sgpr_workgroup_info 0
		.amdhsa_system_vgpr_workitem_id 0
		.amdhsa_next_free_vgpr 148
		.amdhsa_next_free_sgpr 22
		.amdhsa_accum_offset 148
		.amdhsa_reserve_vcc 1
		.amdhsa_float_round_mode_32 0
		.amdhsa_float_round_mode_16_64 0
		.amdhsa_float_denorm_mode_32 3
		.amdhsa_float_denorm_mode_16_64 3
		.amdhsa_dx10_clamp 1
		.amdhsa_ieee_mode 1
		.amdhsa_fp16_overflow 0
		.amdhsa_tg_split 0
		.amdhsa_exception_fp_ieee_invalid_op 0
		.amdhsa_exception_fp_denorm_src 0
		.amdhsa_exception_fp_ieee_div_zero 0
		.amdhsa_exception_fp_ieee_overflow 0
		.amdhsa_exception_fp_ieee_underflow 0
		.amdhsa_exception_fp_ieee_inexact 0
		.amdhsa_exception_int_div_zero 0
	.end_amdhsa_kernel
	.text
.Lfunc_end0:
	.size	fft_rtc_back_len2560_factors_4_4_4_10_4_wgs_128_tpt_128_halfLds_dp_ip_CI_unitstride_sbrr_dirReg, .Lfunc_end0-fft_rtc_back_len2560_factors_4_4_4_10_4_wgs_128_tpt_128_halfLds_dp_ip_CI_unitstride_sbrr_dirReg
                                        ; -- End function
	.section	.AMDGPU.csdata,"",@progbits
; Kernel info:
; codeLenInByte = 11208
; NumSgprs: 28
; NumVgprs: 148
; NumAgprs: 0
; TotalNumVgprs: 148
; ScratchSize: 0
; MemoryBound: 1
; FloatMode: 240
; IeeeMode: 1
; LDSByteSize: 0 bytes/workgroup (compile time only)
; SGPRBlocks: 3
; VGPRBlocks: 18
; NumSGPRsForWavesPerEU: 28
; NumVGPRsForWavesPerEU: 148
; AccumOffset: 148
; Occupancy: 3
; WaveLimiterHint : 1
; COMPUTE_PGM_RSRC2:SCRATCH_EN: 0
; COMPUTE_PGM_RSRC2:USER_SGPR: 2
; COMPUTE_PGM_RSRC2:TRAP_HANDLER: 0
; COMPUTE_PGM_RSRC2:TGID_X_EN: 1
; COMPUTE_PGM_RSRC2:TGID_Y_EN: 0
; COMPUTE_PGM_RSRC2:TGID_Z_EN: 0
; COMPUTE_PGM_RSRC2:TIDIG_COMP_CNT: 0
; COMPUTE_PGM_RSRC3_GFX90A:ACCUM_OFFSET: 36
; COMPUTE_PGM_RSRC3_GFX90A:TG_SPLIT: 0
	.text
	.p2alignl 6, 3212836864
	.fill 256, 4, 3212836864
	.type	__hip_cuid_22ef5d55a28a1b36,@object ; @__hip_cuid_22ef5d55a28a1b36
	.section	.bss,"aw",@nobits
	.globl	__hip_cuid_22ef5d55a28a1b36
__hip_cuid_22ef5d55a28a1b36:
	.byte	0                               ; 0x0
	.size	__hip_cuid_22ef5d55a28a1b36, 1

	.ident	"AMD clang version 19.0.0git (https://github.com/RadeonOpenCompute/llvm-project roc-6.4.0 25133 c7fe45cf4b819c5991fe208aaa96edf142730f1d)"
	.section	".note.GNU-stack","",@progbits
	.addrsig
	.addrsig_sym __hip_cuid_22ef5d55a28a1b36
	.amdgpu_metadata
---
amdhsa.kernels:
  - .agpr_count:     0
    .args:
      - .actual_access:  read_only
        .address_space:  global
        .offset:         0
        .size:           8
        .value_kind:     global_buffer
      - .offset:         8
        .size:           8
        .value_kind:     by_value
      - .actual_access:  read_only
        .address_space:  global
        .offset:         16
        .size:           8
        .value_kind:     global_buffer
      - .actual_access:  read_only
        .address_space:  global
        .offset:         24
        .size:           8
        .value_kind:     global_buffer
      - .offset:         32
        .size:           8
        .value_kind:     by_value
      - .actual_access:  read_only
        .address_space:  global
        .offset:         40
        .size:           8
        .value_kind:     global_buffer
      - .actual_access:  read_only
        .address_space:  global
        .offset:         48
        .size:           8
        .value_kind:     global_buffer
      - .offset:         56
        .size:           4
        .value_kind:     by_value
      - .actual_access:  read_only
        .address_space:  global
        .offset:         64
        .size:           8
        .value_kind:     global_buffer
      - .actual_access:  read_only
        .address_space:  global
        .offset:         72
        .size:           8
        .value_kind:     global_buffer
      - .address_space:  global
        .offset:         80
        .size:           8
        .value_kind:     global_buffer
    .group_segment_fixed_size: 0
    .kernarg_segment_align: 8
    .kernarg_segment_size: 88
    .language:       OpenCL C
    .language_version:
      - 2
      - 0
    .max_flat_workgroup_size: 128
    .name:           fft_rtc_back_len2560_factors_4_4_4_10_4_wgs_128_tpt_128_halfLds_dp_ip_CI_unitstride_sbrr_dirReg
    .private_segment_fixed_size: 0
    .sgpr_count:     28
    .sgpr_spill_count: 0
    .symbol:         fft_rtc_back_len2560_factors_4_4_4_10_4_wgs_128_tpt_128_halfLds_dp_ip_CI_unitstride_sbrr_dirReg.kd
    .uniform_work_group_size: 1
    .uses_dynamic_stack: false
    .vgpr_count:     148
    .vgpr_spill_count: 0
    .wavefront_size: 64
amdhsa.target:   amdgcn-amd-amdhsa--gfx950
amdhsa.version:
  - 1
  - 2
...

	.end_amdgpu_metadata
